;; amdgpu-corpus repo=zjin-lcf/HeCBench kind=compiled arch=gfx950 opt=O3
	.amdgcn_target "amdgcn-amd-amdhsa--gfx950"
	.amdhsa_code_object_version 6
	.section	.text._Z32nll_loss_forward_reduce2d_kernelIffiLi64EEvPT_S1_PKS0_PKT1_S3_blll,"axG",@progbits,_Z32nll_loss_forward_reduce2d_kernelIffiLi64EEvPT_S1_PKS0_PKT1_S3_blll,comdat
	.protected	_Z32nll_loss_forward_reduce2d_kernelIffiLi64EEvPT_S1_PKS0_PKT1_S3_blll ; -- Begin function _Z32nll_loss_forward_reduce2d_kernelIffiLi64EEvPT_S1_PKS0_PKT1_S3_blll
	.globl	_Z32nll_loss_forward_reduce2d_kernelIffiLi64EEvPT_S1_PKS0_PKT1_S3_blll
	.p2align	8
	.type	_Z32nll_loss_forward_reduce2d_kernelIffiLi64EEvPT_S1_PKS0_PKT1_S3_blll,@function
_Z32nll_loss_forward_reduce2d_kernelIffiLi64EEvPT_S1_PKS0_PKT1_S3_blll: ; @_Z32nll_loss_forward_reduce2d_kernelIffiLi64EEvPT_S1_PKS0_PKT1_S3_blll
; %bb.0:
	s_load_dwordx4 s[8:11], s[0:1], 0x30
	s_load_dwordx4 s[4:7], s[0:1], 0x0
	v_mov_b32_e32 v1, 0
	v_lshlrev_b32_e32 v10, 2, v0
	ds_write2st64_b32 v10, v1, v1 offset1:1
	s_waitcnt lgkmcnt(0)
	v_cmp_gt_i64_e32 vcc, s[8:9], v[0:1]
	s_and_saveexec_b64 s[12:13], vcc
	s_cbranch_execz .LBB0_8
; %bb.1:
	s_load_dwordx2 s[14:15], s[0:1], 0x20
	s_load_dwordx4 s[20:23], s[0:1], 0x10
	s_load_dwordx2 s[16:17], s[0:1], 0x40
	v_mad_u64_u32 v[2:3], s[24:25], s10, v0, 0
	s_waitcnt lgkmcnt(0)
	s_cmp_lg_u64 s[14:15], 0
	v_mov_b32_e32 v4, v3
	s_cselect_b64 s[2:3], -1, 0
	v_mad_u64_u32 v[4:5], s[24:25], s11, v0, v[4:5]
	v_mov_b32_e32 v3, v4
	v_lshlrev_b32_e32 v4, 2, v0
	v_mov_b32_e32 v5, v1
	v_cndmask_b32_e64 v6, 0, 1, s[2:3]
	v_add_u32_e32 v11, 0x100, v10
	s_mov_b64 s[18:19], 0
	v_lshl_add_u64 v[2:3], v[2:3], 2, s[20:21]
	s_lshl_b64 s[10:11], s[10:11], 8
	v_lshl_add_u64 v[4:5], s[22:23], 0, v[4:5]
	v_cmp_ne_u32_e64 s[2:3], 1, v6
	s_mov_b64 s[20:21], 0x100
	v_mov_b32_e32 v12, v1
	v_mov_b64_e32 v[6:7], v[0:1]
	s_branch .LBB0_5
.LBB0_2:                                ;   in Loop: Header=BB0_5 Depth=1
	v_lshl_add_u64 v[14:15], v[8:9], 2, s[14:15]
	global_load_dword v13, v[14:15], off
.LBB0_3:                                ;   in Loop: Header=BB0_5 Depth=1
	v_lshl_add_u64 v[8:9], v[8:9], 2, v[2:3]
	global_load_dword v8, v[8:9], off
	s_waitcnt vmcnt(1)
	v_add_f32_e32 v1, v13, v1
	s_waitcnt vmcnt(0)
	v_fma_f32 v12, -v13, v8, v12
	ds_write_b32 v11, v12
	ds_write_b32 v10, v1
.LBB0_4:                                ;   in Loop: Header=BB0_5 Depth=1
	s_or_b64 exec, exec, s[22:23]
	v_lshl_add_u64 v[6:7], v[6:7], 0, 64
	v_cmp_le_i64_e32 vcc, s[8:9], v[6:7]
	v_lshl_add_u64 v[2:3], v[2:3], 0, s[10:11]
	s_or_b64 s[18:19], vcc, s[18:19]
	v_lshl_add_u64 v[4:5], v[4:5], 0, s[20:21]
	s_andn2_b64 exec, exec, s[18:19]
	s_cbranch_execz .LBB0_8
.LBB0_5:                                ; =>This Inner Loop Header: Depth=1
	global_load_dword v8, v[4:5], off
	s_waitcnt vmcnt(0)
	v_ashrrev_i32_e32 v9, 31, v8
	v_cmp_ne_u64_e32 vcc, s[16:17], v[8:9]
	s_and_saveexec_b64 s[22:23], vcc
	s_cbranch_execz .LBB0_4
; %bb.6:                                ;   in Loop: Header=BB0_5 Depth=1
	s_and_b64 vcc, exec, s[2:3]
	s_cbranch_vccz .LBB0_2
; %bb.7:                                ;   in Loop: Header=BB0_5 Depth=1
	v_mov_b32_e32 v13, 1.0
	s_branch .LBB0_3
.LBB0_8:
	s_or_b64 exec, exec, s[12:13]
; %bb.9:
	v_cmp_eq_u32_e32 vcc, 0, v0
	s_waitcnt lgkmcnt(0)
	s_barrier
	s_and_saveexec_b64 s[2:3], vcc
	s_cbranch_execz .LBB0_11
; %bb.10:
	v_mov_b32_e32 v24, 0
	ds_read2_b64 v[0:3], v24 offset0:31 offset1:32
	ds_read_b128 v[16:19], v24
	ds_read_b128 v[12:15], v24 offset:16
	ds_read_b128 v[8:11], v24 offset:32
	;; [unrolled: 1-line block ×3, first 2 shown]
	ds_read2_b64 v[20:23], v24 offset0:29 offset1:30
	ds_read2_b64 v[26:29], v24 offset0:33 offset1:34
	s_waitcnt lgkmcnt(6)
	v_mov_b32_e32 v30, v2
	s_waitcnt lgkmcnt(5)
	v_mov_b32_e32 v31, v16
	v_pk_add_f32 v[30:31], v[30:31], 0 op_sel_hi:[1,0]
	v_mov_b32_e32 v16, v3
	v_pk_add_f32 v[2:3], v[30:31], v[16:17]
	ds_read2_b64 v[30:33], v24 offset0:35 offset1:36
	s_waitcnt lgkmcnt(1)
	v_mov_b32_e32 v16, v26
	v_mov_b32_e32 v17, v18
	v_pk_add_f32 v[2:3], v[2:3], v[16:17]
	v_mov_b32_e32 v18, v27
	v_pk_add_f32 v[2:3], v[2:3], v[18:19]
	v_mov_b32_e32 v16, v28
	v_mov_b32_e32 v17, v12
	v_pk_add_f32 v[2:3], v[2:3], v[16:17]
	v_mov_b32_e32 v12, v29
	v_pk_add_f32 v[2:3], v[2:3], v[12:13]
	v_mov_b32_e32 v13, v14
	ds_read_b96 v[26:28], v24 offset:64
	s_waitcnt lgkmcnt(1)
	v_mov_b32_e32 v12, v30
	v_pk_add_f32 v[2:3], v[2:3], v[12:13]
	v_mov_b32_e32 v14, v31
	v_pk_add_f32 v[2:3], v[2:3], v[14:15]
	ds_read2_b64 v[12:15], v24 offset0:39 offset1:40
	ds_read2_b64 v[16:19], v24 offset0:37 offset1:38
	v_mov_b32_e32 v30, v32
	v_mov_b32_e32 v31, v8
	v_pk_add_f32 v[2:3], v[2:3], v[30:31]
	v_mov_b32_e32 v8, v33
	v_pk_add_f32 v[2:3], v[2:3], v[8:9]
	s_waitcnt lgkmcnt(0)
	v_mov_b32_e32 v8, v16
	v_mov_b32_e32 v9, v10
	v_pk_add_f32 v[2:3], v[2:3], v[8:9]
	v_mov_b32_e32 v10, v17
	v_pk_add_f32 v[2:3], v[2:3], v[10:11]
	v_mov_b32_e32 v8, v18
	v_mov_b32_e32 v9, v4
	v_pk_add_f32 v[2:3], v[2:3], v[8:9]
	v_mov_b32_e32 v4, v19
	v_pk_add_f32 v[2:3], v[2:3], v[4:5]
	;; [unrolled: 5-line block ×3, first 2 shown]
	ds_read2_b32 v[4:5], v24 offset0:19 offset1:20
	ds_read2_b32 v[6:7], v24 offset0:81 offset1:82
	v_mov_b32_e32 v15, v26
	ds_read2_b32 v[8:9], v24 offset0:83 offset1:84
	ds_read2_b32 v[10:11], v24 offset0:85 offset1:86
	;; [unrolled: 1-line block ×3, first 2 shown]
	v_pk_add_f32 v[2:3], v[2:3], v[14:15]
	ds_read2_b32 v[18:19], v24 offset0:27 offset1:49
	s_waitcnt lgkmcnt(4)
	v_mov_b32_e32 v26, v6
	v_pk_add_f32 v[2:3], v[2:3], v[26:27]
	v_mov_b32_e32 v6, v7
	v_mov_b32_e32 v7, v28
	v_pk_add_f32 v[2:3], v[2:3], v[6:7]
	s_waitcnt lgkmcnt(3)
	v_mov_b32_e32 v6, v8
	v_mov_b32_e32 v7, v4
	v_pk_add_f32 v[2:3], v[2:3], v[6:7]
	ds_read2_b32 v[6:7], v24 offset0:21 offset1:22
	v_mov_b32_e32 v4, v9
	v_pk_add_f32 v[2:3], v[2:3], v[4:5]
	s_waitcnt lgkmcnt(3)
	v_mov_b32_e32 v4, v10
	ds_read2_b32 v[8:9], v24 offset0:23 offset1:24
	ds_read2_b32 v[14:15], v24 offset0:25 offset1:26
	s_waitcnt lgkmcnt(2)
	v_mov_b32_e32 v5, v6
	v_pk_add_f32 v[2:3], v[2:3], v[4:5]
	v_mov_b32_e32 v6, v11
	v_pk_add_f32 v[2:3], v[2:3], v[6:7]
	ds_read2_b32 v[10:11], v24 offset0:91 offset1:92
	ds_read2_b32 v[6:7], v24 offset0:89 offset1:90
	v_mov_b32_e32 v4, v12
	s_waitcnt lgkmcnt(3)
	v_mov_b32_e32 v5, v8
	v_pk_add_f32 v[2:3], v[2:3], v[4:5]
	v_mov_b32_e32 v8, v13
	v_pk_add_f32 v[2:3], v[2:3], v[8:9]
	s_waitcnt lgkmcnt(0)
	v_mov_b32_e32 v4, v6
	v_mov_b32_e32 v5, v14
	v_pk_add_f32 v[2:3], v[2:3], v[4:5]
	v_mov_b32_e32 v14, v7
	v_pk_add_f32 v[12:13], v[2:3], v[14:15]
	ds_read_b128 v[2:5], v24 offset:368
	ds_read_b128 v[6:9], v24 offset:112
	;; [unrolled: 1-line block ×3, first 2 shown]
	v_mov_b32_e32 v11, v18
	v_pk_add_f32 v[26:27], v[12:13], v[10:11]
	ds_read_b128 v[10:13], v24 offset:384
	s_waitcnt lgkmcnt(3)
	v_mov_b32_e32 v28, v2
	s_waitcnt lgkmcnt(2)
	v_mov_b32_e32 v29, v6
	v_pk_add_f32 v[26:27], v[26:27], v[28:29]
	v_mov_b32_e32 v6, v3
	v_pk_add_f32 v[2:3], v[26:27], v[6:7]
	v_mov_b32_e32 v6, v4
	v_mov_b32_e32 v7, v8
	v_pk_add_f32 v[2:3], v[2:3], v[6:7]
	v_mov_b32_e32 v8, v5
	ds_read_b128 v[26:29], v24 offset:400
	ds_read_b96 v[30:32], v24 offset:144
	v_pk_add_f32 v[2:3], v[2:3], v[8:9]
	s_waitcnt lgkmcnt(2)
	v_mov_b32_e32 v4, v10
	v_mov_b32_e32 v5, v14
	v_pk_add_f32 v[2:3], v[2:3], v[4:5]
	v_mov_b32_e32 v14, v11
	v_pk_add_f32 v[2:3], v[2:3], v[14:15]
	v_mov_b32_e32 v4, v12
	v_mov_b32_e32 v5, v16
	v_pk_add_f32 v[2:3], v[2:3], v[4:5]
	ds_read2_b32 v[4:5], v24 offset0:103 offset1:104
	ds_read2_b32 v[8:9], v24 offset0:39 offset1:40
	v_mov_b32_e32 v16, v13
	v_pk_add_f32 v[2:3], v[2:3], v[16:17]
	s_waitcnt lgkmcnt(3)
	v_mov_b32_e32 v6, v26
	s_waitcnt lgkmcnt(2)
	v_mov_b32_e32 v7, v30
	v_pk_add_f32 v[2:3], v[2:3], v[6:7]
	v_mov_b32_e32 v30, v27
	v_pk_add_f32 v[2:3], v[2:3], v[30:31]
	;; [unrolled: 2-line block ×3, first 2 shown]
	s_waitcnt lgkmcnt(1)
	v_mov_b32_e32 v6, v4
	s_waitcnt lgkmcnt(0)
	v_mov_b32_e32 v7, v8
	v_pk_add_f32 v[2:3], v[2:3], v[6:7]
	v_mov_b32_e32 v8, v5
	v_pk_add_f32 v[2:3], v[2:3], v[8:9]
	ds_read2_b32 v[4:5], v24 offset0:105 offset1:106
	ds_read2_b32 v[6:7], v24 offset0:41 offset1:42
	;; [unrolled: 1-line block ×8, first 2 shown]
	s_waitcnt lgkmcnt(7)
	v_mov_b32_e32 v14, v4
	s_waitcnt lgkmcnt(6)
	v_mov_b32_e32 v15, v6
	v_pk_add_f32 v[2:3], v[2:3], v[14:15]
	v_mov_b32_e32 v6, v5
	v_pk_add_f32 v[2:3], v[2:3], v[6:7]
	s_waitcnt lgkmcnt(5)
	v_mov_b32_e32 v4, v8
	s_waitcnt lgkmcnt(2)
	v_mov_b32_e32 v5, v16
	v_pk_add_f32 v[2:3], v[2:3], v[4:5]
	v_mov_b32_e32 v16, v9
	v_pk_add_f32 v[2:3], v[2:3], v[16:17]
	v_mov_b32_e32 v4, v10
	s_waitcnt lgkmcnt(1)
	v_mov_b32_e32 v5, v26
	v_pk_add_f32 v[2:3], v[2:3], v[4:5]
	v_mov_b32_e32 v26, v11
	v_pk_add_f32 v[2:3], v[2:3], v[26:27]
	v_mov_b32_e32 v4, v12
	s_waitcnt lgkmcnt(0)
	v_mov_b32_e32 v5, v28
	v_pk_add_f32 v[6:7], v[2:3], v[4:5]
	v_mov_b32_e32 v28, v13
	ds_read2_b32 v[10:11], v24 offset0:113 offset1:114
	ds_read2_b64 v[2:5], v24 offset0:57 offset1:58
	v_pk_add_f32 v[12:13], v[6:7], v[28:29]
	ds_read2_b64 v[6:9], v24 offset0:25 offset1:26
	s_waitcnt lgkmcnt(2)
	v_mov_b32_e32 v11, v19
	v_pk_add_f32 v[14:15], v[12:13], v[10:11]
	s_waitcnt lgkmcnt(1)
	v_mov_b32_e32 v16, v2
	ds_read2_b64 v[10:13], v24 offset0:27 offset1:28
	s_waitcnt lgkmcnt(1)
	v_mov_b32_e32 v17, v6
	v_pk_add_f32 v[14:15], v[14:15], v[16:17]
	v_mov_b32_e32 v6, v3
	v_pk_add_f32 v[2:3], v[14:15], v[6:7]
	ds_read2_b64 v[14:17], v24 offset0:59 offset1:60
	v_mov_b32_e32 v6, v4
	v_mov_b32_e32 v7, v8
	v_pk_add_f32 v[2:3], v[2:3], v[6:7]
	v_mov_b32_e32 v8, v5
	v_pk_add_f32 v[6:7], v[2:3], v[8:9]
	ds_read2_b64 v[2:5], v24 offset0:61 offset1:62
	s_waitcnt lgkmcnt(1)
	v_mov_b32_e32 v8, v14
	v_mov_b32_e32 v9, v10
	v_pk_add_f32 v[6:7], v[6:7], v[8:9]
	v_mov_b32_e32 v10, v15
	v_pk_add_f32 v[6:7], v[6:7], v[10:11]
	v_mov_b32_e32 v8, v16
	v_mov_b32_e32 v9, v12
	v_pk_add_f32 v[6:7], v[6:7], v[8:9]
	v_mov_b32_e32 v12, v17
	v_pk_add_f32 v[6:7], v[6:7], v[12:13]
	s_waitcnt lgkmcnt(0)
	v_mov_b32_e32 v8, v2
	v_mov_b32_e32 v9, v20
	v_pk_add_f32 v[6:7], v[6:7], v[8:9]
	ds_read_b64 v[8:9], v24 offset:504
	v_mov_b32_e32 v20, v3
	v_pk_add_f32 v[2:3], v[6:7], v[20:21]
	v_mov_b32_e32 v6, v4
	v_mov_b32_e32 v7, v22
	v_pk_add_f32 v[2:3], v[2:3], v[6:7]
	v_mov_b32_e32 v22, v5
	v_pk_add_f32 v[2:3], v[2:3], v[22:23]
	s_waitcnt lgkmcnt(0)
	v_mov_b32_e32 v4, v8
	v_mov_b32_e32 v5, v0
	v_pk_add_f32 v[2:3], v[2:3], v[4:5]
	v_mov_b32_e32 v0, v9
	v_pk_add_f32 v[0:1], v[2:3], v[0:1]
	s_load_dword s0, s[0:1], 0x28
	v_div_scale_f32 v2, s[2:3], v1, v1, v0
	v_rcp_f32_e32 v3, v2
	global_store_dword v24, v1, s[6:7]
	s_waitcnt lgkmcnt(0)
	s_bitcmp1_b32 s0, 0
	v_fma_f32 v4, -v2, v3, 1.0
	v_fmac_f32_e32 v3, v4, v3
	v_div_scale_f32 v4, vcc, v0, v1, v0
	v_mul_f32_e32 v5, v4, v3
	v_fma_f32 v6, -v2, v5, v4
	v_fmac_f32_e32 v5, v6, v3
	v_fma_f32 v2, -v2, v5, v4
	v_div_fmas_f32 v2, v2, v3, v5
	v_div_fixup_f32 v1, v2, v1, v0
	s_cselect_b64 vcc, -1, 0
	v_cndmask_b32_e32 v0, v0, v1, vcc
	global_store_dword v24, v0, s[4:5]
.LBB0_11:
	s_endpgm
	.section	.rodata,"a",@progbits
	.p2align	6, 0x0
	.amdhsa_kernel _Z32nll_loss_forward_reduce2d_kernelIffiLi64EEvPT_S1_PKS0_PKT1_S3_blll
		.amdhsa_group_segment_fixed_size 512
		.amdhsa_private_segment_fixed_size 0
		.amdhsa_kernarg_size 72
		.amdhsa_user_sgpr_count 2
		.amdhsa_user_sgpr_dispatch_ptr 0
		.amdhsa_user_sgpr_queue_ptr 0
		.amdhsa_user_sgpr_kernarg_segment_ptr 1
		.amdhsa_user_sgpr_dispatch_id 0
		.amdhsa_user_sgpr_kernarg_preload_length 0
		.amdhsa_user_sgpr_kernarg_preload_offset 0
		.amdhsa_user_sgpr_private_segment_size 0
		.amdhsa_uses_dynamic_stack 0
		.amdhsa_enable_private_segment 0
		.amdhsa_system_sgpr_workgroup_id_x 1
		.amdhsa_system_sgpr_workgroup_id_y 0
		.amdhsa_system_sgpr_workgroup_id_z 0
		.amdhsa_system_sgpr_workgroup_info 0
		.amdhsa_system_vgpr_workitem_id 0
		.amdhsa_next_free_vgpr 34
		.amdhsa_next_free_sgpr 26
		.amdhsa_accum_offset 36
		.amdhsa_reserve_vcc 1
		.amdhsa_float_round_mode_32 0
		.amdhsa_float_round_mode_16_64 0
		.amdhsa_float_denorm_mode_32 3
		.amdhsa_float_denorm_mode_16_64 3
		.amdhsa_dx10_clamp 1
		.amdhsa_ieee_mode 1
		.amdhsa_fp16_overflow 0
		.amdhsa_tg_split 0
		.amdhsa_exception_fp_ieee_invalid_op 0
		.amdhsa_exception_fp_denorm_src 0
		.amdhsa_exception_fp_ieee_div_zero 0
		.amdhsa_exception_fp_ieee_overflow 0
		.amdhsa_exception_fp_ieee_underflow 0
		.amdhsa_exception_fp_ieee_inexact 0
		.amdhsa_exception_int_div_zero 0
	.end_amdhsa_kernel
	.section	.text._Z32nll_loss_forward_reduce2d_kernelIffiLi64EEvPT_S1_PKS0_PKT1_S3_blll,"axG",@progbits,_Z32nll_loss_forward_reduce2d_kernelIffiLi64EEvPT_S1_PKS0_PKT1_S3_blll,comdat
.Lfunc_end0:
	.size	_Z32nll_loss_forward_reduce2d_kernelIffiLi64EEvPT_S1_PKS0_PKT1_S3_blll, .Lfunc_end0-_Z32nll_loss_forward_reduce2d_kernelIffiLi64EEvPT_S1_PKS0_PKT1_S3_blll
                                        ; -- End function
	.set _Z32nll_loss_forward_reduce2d_kernelIffiLi64EEvPT_S1_PKS0_PKT1_S3_blll.num_vgpr, 34
	.set _Z32nll_loss_forward_reduce2d_kernelIffiLi64EEvPT_S1_PKS0_PKT1_S3_blll.num_agpr, 0
	.set _Z32nll_loss_forward_reduce2d_kernelIffiLi64EEvPT_S1_PKS0_PKT1_S3_blll.numbered_sgpr, 26
	.set _Z32nll_loss_forward_reduce2d_kernelIffiLi64EEvPT_S1_PKS0_PKT1_S3_blll.num_named_barrier, 0
	.set _Z32nll_loss_forward_reduce2d_kernelIffiLi64EEvPT_S1_PKS0_PKT1_S3_blll.private_seg_size, 0
	.set _Z32nll_loss_forward_reduce2d_kernelIffiLi64EEvPT_S1_PKS0_PKT1_S3_blll.uses_vcc, 1
	.set _Z32nll_loss_forward_reduce2d_kernelIffiLi64EEvPT_S1_PKS0_PKT1_S3_blll.uses_flat_scratch, 0
	.set _Z32nll_loss_forward_reduce2d_kernelIffiLi64EEvPT_S1_PKS0_PKT1_S3_blll.has_dyn_sized_stack, 0
	.set _Z32nll_loss_forward_reduce2d_kernelIffiLi64EEvPT_S1_PKS0_PKT1_S3_blll.has_recursion, 0
	.set _Z32nll_loss_forward_reduce2d_kernelIffiLi64EEvPT_S1_PKS0_PKT1_S3_blll.has_indirect_call, 0
	.section	.AMDGPU.csdata,"",@progbits
; Kernel info:
; codeLenInByte = 1852
; TotalNumSgprs: 32
; NumVgprs: 34
; NumAgprs: 0
; TotalNumVgprs: 34
; ScratchSize: 0
; MemoryBound: 0
; FloatMode: 240
; IeeeMode: 1
; LDSByteSize: 512 bytes/workgroup (compile time only)
; SGPRBlocks: 3
; VGPRBlocks: 4
; NumSGPRsForWavesPerEU: 32
; NumVGPRsForWavesPerEU: 34
; AccumOffset: 36
; Occupancy: 8
; WaveLimiterHint : 1
; COMPUTE_PGM_RSRC2:SCRATCH_EN: 0
; COMPUTE_PGM_RSRC2:USER_SGPR: 2
; COMPUTE_PGM_RSRC2:TRAP_HANDLER: 0
; COMPUTE_PGM_RSRC2:TGID_X_EN: 1
; COMPUTE_PGM_RSRC2:TGID_Y_EN: 0
; COMPUTE_PGM_RSRC2:TGID_Z_EN: 0
; COMPUTE_PGM_RSRC2:TIDIG_COMP_CNT: 0
; COMPUTE_PGM_RSRC3_GFX90A:ACCUM_OFFSET: 8
; COMPUTE_PGM_RSRC3_GFX90A:TG_SPLIT: 0
	.section	.text._Z32nll_loss_forward_reduce2d_kernelIffiLi128EEvPT_S1_PKS0_PKT1_S3_blll,"axG",@progbits,_Z32nll_loss_forward_reduce2d_kernelIffiLi128EEvPT_S1_PKS0_PKT1_S3_blll,comdat
	.protected	_Z32nll_loss_forward_reduce2d_kernelIffiLi128EEvPT_S1_PKS0_PKT1_S3_blll ; -- Begin function _Z32nll_loss_forward_reduce2d_kernelIffiLi128EEvPT_S1_PKS0_PKT1_S3_blll
	.globl	_Z32nll_loss_forward_reduce2d_kernelIffiLi128EEvPT_S1_PKS0_PKT1_S3_blll
	.p2align	8
	.type	_Z32nll_loss_forward_reduce2d_kernelIffiLi128EEvPT_S1_PKS0_PKT1_S3_blll,@function
_Z32nll_loss_forward_reduce2d_kernelIffiLi128EEvPT_S1_PKS0_PKT1_S3_blll: ; @_Z32nll_loss_forward_reduce2d_kernelIffiLi128EEvPT_S1_PKS0_PKT1_S3_blll
; %bb.0:
	s_load_dwordx4 s[8:11], s[0:1], 0x30
	s_load_dwordx4 s[4:7], s[0:1], 0x0
	v_mov_b32_e32 v1, 0
	v_lshlrev_b32_e32 v10, 2, v0
	ds_write2st64_b32 v10, v1, v1 offset1:2
	s_waitcnt lgkmcnt(0)
	v_cmp_gt_i64_e32 vcc, s[8:9], v[0:1]
	s_and_saveexec_b64 s[12:13], vcc
	s_cbranch_execz .LBB1_8
; %bb.1:
	s_load_dwordx2 s[14:15], s[0:1], 0x20
	s_load_dwordx4 s[20:23], s[0:1], 0x10
	s_load_dwordx2 s[16:17], s[0:1], 0x40
	v_mad_u64_u32 v[2:3], s[24:25], s10, v0, 0
	s_waitcnt lgkmcnt(0)
	s_cmp_lg_u64 s[14:15], 0
	v_mov_b32_e32 v4, v3
	s_cselect_b64 s[2:3], -1, 0
	v_mad_u64_u32 v[4:5], s[24:25], s11, v0, v[4:5]
	v_mov_b32_e32 v3, v4
	v_lshlrev_b32_e32 v4, 2, v0
	v_mov_b32_e32 v5, v1
	v_cndmask_b32_e64 v6, 0, 1, s[2:3]
	v_add_u32_e32 v11, 0x200, v10
	s_mov_b64 s[18:19], 0
	v_lshl_add_u64 v[2:3], v[2:3], 2, s[20:21]
	s_lshl_b64 s[10:11], s[10:11], 9
	v_lshl_add_u64 v[4:5], s[22:23], 0, v[4:5]
	v_cmp_ne_u32_e64 s[2:3], 1, v6
	s_mov_b64 s[20:21], 0x80
	s_mov_b64 s[22:23], 0x200
	v_mov_b32_e32 v12, v1
	v_mov_b64_e32 v[6:7], v[0:1]
	s_branch .LBB1_5
.LBB1_2:                                ;   in Loop: Header=BB1_5 Depth=1
	v_lshl_add_u64 v[14:15], v[8:9], 2, s[14:15]
	global_load_dword v13, v[14:15], off
.LBB1_3:                                ;   in Loop: Header=BB1_5 Depth=1
	v_lshl_add_u64 v[8:9], v[8:9], 2, v[2:3]
	global_load_dword v8, v[8:9], off
	s_waitcnt vmcnt(1)
	v_add_f32_e32 v1, v13, v1
	s_waitcnt vmcnt(0)
	v_fma_f32 v12, -v13, v8, v12
	ds_write_b32 v11, v12
	ds_write_b32 v10, v1
.LBB1_4:                                ;   in Loop: Header=BB1_5 Depth=1
	s_or_b64 exec, exec, s[24:25]
	v_lshl_add_u64 v[6:7], v[6:7], 0, s[20:21]
	v_cmp_le_i64_e32 vcc, s[8:9], v[6:7]
	v_lshl_add_u64 v[2:3], v[2:3], 0, s[10:11]
	s_or_b64 s[18:19], vcc, s[18:19]
	v_lshl_add_u64 v[4:5], v[4:5], 0, s[22:23]
	s_andn2_b64 exec, exec, s[18:19]
	s_cbranch_execz .LBB1_8
.LBB1_5:                                ; =>This Inner Loop Header: Depth=1
	global_load_dword v8, v[4:5], off
	s_waitcnt vmcnt(0)
	v_ashrrev_i32_e32 v9, 31, v8
	v_cmp_ne_u64_e32 vcc, s[16:17], v[8:9]
	s_and_saveexec_b64 s[24:25], vcc
	s_cbranch_execz .LBB1_4
; %bb.6:                                ;   in Loop: Header=BB1_5 Depth=1
	s_and_b64 vcc, exec, s[2:3]
	s_cbranch_vccz .LBB1_2
; %bb.7:                                ;   in Loop: Header=BB1_5 Depth=1
	v_mov_b32_e32 v13, 1.0
	s_branch .LBB1_3
.LBB1_8:
	s_or_b64 exec, exec, s[12:13]
	v_cmp_eq_u32_e32 vcc, 0, v0
	s_waitcnt lgkmcnt(0)
	s_barrier
	s_and_saveexec_b64 s[2:3], vcc
	s_cbranch_execz .LBB1_10
; %bb.9:
	v_mov_b32_e32 v0, 0
	ds_read_b128 v[2:5], v0
	ds_read_b128 v[6:9], v0 offset:512
	ds_read_b128 v[10:13], v0 offset:16
	;; [unrolled: 1-line block ×5, first 2 shown]
	s_waitcnt lgkmcnt(5)
	v_mov_b32_e32 v26, v2
	s_waitcnt lgkmcnt(4)
	v_mov_b32_e32 v27, v6
	v_pk_add_f32 v[26:27], v[26:27], 0 op_sel_hi:[1,0]
	v_mov_b32_e32 v6, v3
	v_pk_add_f32 v[2:3], v[26:27], v[6:7]
	v_mov_b32_e32 v6, v4
	v_mov_b32_e32 v7, v8
	v_pk_add_f32 v[2:3], v[2:3], v[6:7]
	v_mov_b32_e32 v8, v5
	v_pk_add_f32 v[2:3], v[2:3], v[8:9]
	s_waitcnt lgkmcnt(3)
	v_mov_b32_e32 v4, v10
	s_waitcnt lgkmcnt(0)
	v_mov_b32_e32 v5, v22
	v_pk_add_f32 v[2:3], v[2:3], v[4:5]
	v_mov_b32_e32 v22, v11
	v_pk_add_f32 v[2:3], v[2:3], v[22:23]
	v_mov_b32_e32 v4, v12
	v_mov_b32_e32 v5, v24
	v_pk_add_f32 v[6:7], v[2:3], v[4:5]
	ds_read_b128 v[2:5], v0 offset:544
	v_mov_b32_e32 v24, v13
	v_pk_add_f32 v[10:11], v[6:7], v[24:25]
	ds_read_b128 v[6:9], v0 offset:560
	v_mov_b32_e32 v12, v14
	s_waitcnt lgkmcnt(1)
	v_mov_b32_e32 v13, v2
	v_pk_add_f32 v[10:11], v[10:11], v[12:13]
	v_mov_b32_e32 v2, v15
	v_pk_add_f32 v[2:3], v[10:11], v[2:3]
	v_mov_b32_e32 v10, v16
	v_mov_b32_e32 v11, v4
	v_pk_add_f32 v[2:3], v[2:3], v[10:11]
	v_mov_b32_e32 v4, v17
	v_pk_add_f32 v[2:3], v[2:3], v[4:5]
	v_mov_b32_e32 v4, v18
	s_waitcnt lgkmcnt(0)
	v_mov_b32_e32 v5, v6
	v_pk_add_f32 v[2:3], v[2:3], v[4:5]
	v_mov_b32_e32 v6, v19
	v_pk_add_f32 v[2:3], v[2:3], v[6:7]
	v_mov_b32_e32 v4, v20
	v_mov_b32_e32 v5, v8
	v_pk_add_f32 v[6:7], v[2:3], v[4:5]
	ds_read_b128 v[2:5], v0 offset:64
	ds_read_b128 v[10:13], v0 offset:576
	;; [unrolled: 1-line block ×3, first 2 shown]
	v_mov_b32_e32 v8, v21
	v_pk_add_f32 v[18:19], v[6:7], v[8:9]
	ds_read_b128 v[6:9], v0 offset:80
	s_waitcnt lgkmcnt(3)
	v_mov_b32_e32 v20, v2
	s_waitcnt lgkmcnt(2)
	v_mov_b32_e32 v21, v10
	v_pk_add_f32 v[18:19], v[18:19], v[20:21]
	v_mov_b32_e32 v10, v3
	v_pk_add_f32 v[2:3], v[18:19], v[10:11]
	v_mov_b32_e32 v10, v4
	v_mov_b32_e32 v11, v12
	v_pk_add_f32 v[2:3], v[2:3], v[10:11]
	v_mov_b32_e32 v12, v5
	v_pk_add_f32 v[2:3], v[2:3], v[12:13]
	s_waitcnt lgkmcnt(0)
	v_mov_b32_e32 v4, v6
	v_mov_b32_e32 v5, v14
	v_pk_add_f32 v[2:3], v[2:3], v[4:5]
	v_mov_b32_e32 v14, v7
	v_pk_add_f32 v[2:3], v[2:3], v[14:15]
	v_mov_b32_e32 v4, v8
	v_mov_b32_e32 v5, v16
	v_pk_add_f32 v[10:11], v[2:3], v[4:5]
	ds_read_b128 v[2:5], v0 offset:96
	v_mov_b32_e32 v16, v9
	ds_read_b128 v[6:9], v0 offset:608
	v_pk_add_f32 v[18:19], v[10:11], v[16:17]
	ds_read_b128 v[10:13], v0 offset:112
	ds_read_b128 v[14:17], v0 offset:624
	s_waitcnt lgkmcnt(3)
	v_mov_b32_e32 v20, v2
	s_waitcnt lgkmcnt(2)
	v_mov_b32_e32 v21, v6
	v_pk_add_f32 v[18:19], v[18:19], v[20:21]
	v_mov_b32_e32 v6, v3
	v_pk_add_f32 v[2:3], v[18:19], v[6:7]
	v_mov_b32_e32 v6, v4
	v_mov_b32_e32 v7, v8
	v_pk_add_f32 v[2:3], v[2:3], v[6:7]
	v_mov_b32_e32 v8, v5
	v_pk_add_f32 v[2:3], v[2:3], v[8:9]
	s_waitcnt lgkmcnt(1)
	v_mov_b32_e32 v4, v10
	s_waitcnt lgkmcnt(0)
	v_mov_b32_e32 v5, v14
	v_pk_add_f32 v[2:3], v[2:3], v[4:5]
	v_mov_b32_e32 v14, v11
	v_pk_add_f32 v[2:3], v[2:3], v[14:15]
	v_mov_b32_e32 v4, v12
	v_mov_b32_e32 v5, v16
	v_pk_add_f32 v[10:11], v[2:3], v[4:5]
	ds_read_b128 v[2:5], v0 offset:128
	ds_read_b128 v[6:9], v0 offset:640
	v_mov_b32_e32 v16, v13
	v_pk_add_f32 v[18:19], v[10:11], v[16:17]
	ds_read_b128 v[10:13], v0 offset:144
	ds_read_b128 v[14:17], v0 offset:656
	s_waitcnt lgkmcnt(3)
	v_mov_b32_e32 v20, v2
	s_waitcnt lgkmcnt(2)
	v_mov_b32_e32 v21, v6
	v_pk_add_f32 v[18:19], v[18:19], v[20:21]
	v_mov_b32_e32 v6, v3
	v_pk_add_f32 v[2:3], v[18:19], v[6:7]
	v_mov_b32_e32 v6, v4
	v_mov_b32_e32 v7, v8
	v_pk_add_f32 v[2:3], v[2:3], v[6:7]
	v_mov_b32_e32 v8, v5
	v_pk_add_f32 v[2:3], v[2:3], v[8:9]
	s_waitcnt lgkmcnt(1)
	v_mov_b32_e32 v4, v10
	s_waitcnt lgkmcnt(0)
	v_mov_b32_e32 v5, v14
	v_pk_add_f32 v[2:3], v[2:3], v[4:5]
	v_mov_b32_e32 v14, v11
	v_pk_add_f32 v[2:3], v[2:3], v[14:15]
	v_mov_b32_e32 v4, v12
	v_mov_b32_e32 v5, v16
	v_pk_add_f32 v[10:11], v[2:3], v[4:5]
	ds_read_b128 v[2:5], v0 offset:160
	ds_read_b128 v[6:9], v0 offset:672
	v_mov_b32_e32 v16, v13
	;; [unrolled: 28-line block ×12, first 2 shown]
	v_pk_add_f32 v[18:19], v[10:11], v[16:17]
	ds_read_b128 v[10:13], v0 offset:496
	ds_read_b128 v[14:17], v0 offset:1008
	s_waitcnt lgkmcnt(3)
	v_mov_b32_e32 v20, v2
	s_waitcnt lgkmcnt(2)
	v_mov_b32_e32 v21, v6
	v_pk_add_f32 v[18:19], v[18:19], v[20:21]
	v_mov_b32_e32 v6, v3
	v_pk_add_f32 v[2:3], v[18:19], v[6:7]
	v_mov_b32_e32 v6, v4
	v_mov_b32_e32 v7, v8
	v_pk_add_f32 v[2:3], v[2:3], v[6:7]
	v_mov_b32_e32 v8, v5
	v_pk_add_f32 v[2:3], v[2:3], v[8:9]
	s_waitcnt lgkmcnt(1)
	v_mov_b32_e32 v4, v10
	s_waitcnt lgkmcnt(0)
	v_mov_b32_e32 v5, v14
	v_pk_add_f32 v[2:3], v[2:3], v[4:5]
	v_mov_b32_e32 v14, v11
	v_pk_add_f32 v[2:3], v[2:3], v[14:15]
	v_mov_b32_e32 v4, v12
	v_mov_b32_e32 v5, v16
	v_pk_add_f32 v[2:3], v[2:3], v[4:5]
	v_mov_b32_e32 v16, v13
	v_pk_add_f32 v[2:3], v[2:3], v[16:17]
	s_load_dword s0, s[0:1], 0x28
	v_div_scale_f32 v1, s[2:3], v2, v2, v3
	v_rcp_f32_e32 v4, v1
	global_store_dword v0, v2, s[6:7]
	s_waitcnt lgkmcnt(0)
	s_bitcmp1_b32 s0, 0
	v_fma_f32 v5, -v1, v4, 1.0
	v_fmac_f32_e32 v4, v5, v4
	v_div_scale_f32 v5, vcc, v3, v2, v3
	v_mul_f32_e32 v6, v5, v4
	v_fma_f32 v7, -v1, v6, v5
	v_fmac_f32_e32 v6, v7, v4
	v_fma_f32 v1, -v1, v6, v5
	v_div_fmas_f32 v1, v1, v4, v6
	v_div_fixup_f32 v1, v1, v2, v3
	s_cselect_b64 vcc, -1, 0
	v_cndmask_b32_e32 v1, v3, v1, vcc
	global_store_dword v0, v1, s[4:5]
.LBB1_10:
	s_endpgm
	.section	.rodata,"a",@progbits
	.p2align	6, 0x0
	.amdhsa_kernel _Z32nll_loss_forward_reduce2d_kernelIffiLi128EEvPT_S1_PKS0_PKT1_S3_blll
		.amdhsa_group_segment_fixed_size 1024
		.amdhsa_private_segment_fixed_size 0
		.amdhsa_kernarg_size 72
		.amdhsa_user_sgpr_count 2
		.amdhsa_user_sgpr_dispatch_ptr 0
		.amdhsa_user_sgpr_queue_ptr 0
		.amdhsa_user_sgpr_kernarg_segment_ptr 1
		.amdhsa_user_sgpr_dispatch_id 0
		.amdhsa_user_sgpr_kernarg_preload_length 0
		.amdhsa_user_sgpr_kernarg_preload_offset 0
		.amdhsa_user_sgpr_private_segment_size 0
		.amdhsa_uses_dynamic_stack 0
		.amdhsa_enable_private_segment 0
		.amdhsa_system_sgpr_workgroup_id_x 1
		.amdhsa_system_sgpr_workgroup_id_y 0
		.amdhsa_system_sgpr_workgroup_id_z 0
		.amdhsa_system_sgpr_workgroup_info 0
		.amdhsa_system_vgpr_workitem_id 0
		.amdhsa_next_free_vgpr 28
		.amdhsa_next_free_sgpr 26
		.amdhsa_accum_offset 28
		.amdhsa_reserve_vcc 1
		.amdhsa_float_round_mode_32 0
		.amdhsa_float_round_mode_16_64 0
		.amdhsa_float_denorm_mode_32 3
		.amdhsa_float_denorm_mode_16_64 3
		.amdhsa_dx10_clamp 1
		.amdhsa_ieee_mode 1
		.amdhsa_fp16_overflow 0
		.amdhsa_tg_split 0
		.amdhsa_exception_fp_ieee_invalid_op 0
		.amdhsa_exception_fp_denorm_src 0
		.amdhsa_exception_fp_ieee_div_zero 0
		.amdhsa_exception_fp_ieee_overflow 0
		.amdhsa_exception_fp_ieee_underflow 0
		.amdhsa_exception_fp_ieee_inexact 0
		.amdhsa_exception_int_div_zero 0
	.end_amdhsa_kernel
	.section	.text._Z32nll_loss_forward_reduce2d_kernelIffiLi128EEvPT_S1_PKS0_PKT1_S3_blll,"axG",@progbits,_Z32nll_loss_forward_reduce2d_kernelIffiLi128EEvPT_S1_PKS0_PKT1_S3_blll,comdat
.Lfunc_end1:
	.size	_Z32nll_loss_forward_reduce2d_kernelIffiLi128EEvPT_S1_PKS0_PKT1_S3_blll, .Lfunc_end1-_Z32nll_loss_forward_reduce2d_kernelIffiLi128EEvPT_S1_PKS0_PKT1_S3_blll
                                        ; -- End function
	.set _Z32nll_loss_forward_reduce2d_kernelIffiLi128EEvPT_S1_PKS0_PKT1_S3_blll.num_vgpr, 28
	.set _Z32nll_loss_forward_reduce2d_kernelIffiLi128EEvPT_S1_PKS0_PKT1_S3_blll.num_agpr, 0
	.set _Z32nll_loss_forward_reduce2d_kernelIffiLi128EEvPT_S1_PKS0_PKT1_S3_blll.numbered_sgpr, 26
	.set _Z32nll_loss_forward_reduce2d_kernelIffiLi128EEvPT_S1_PKS0_PKT1_S3_blll.num_named_barrier, 0
	.set _Z32nll_loss_forward_reduce2d_kernelIffiLi128EEvPT_S1_PKS0_PKT1_S3_blll.private_seg_size, 0
	.set _Z32nll_loss_forward_reduce2d_kernelIffiLi128EEvPT_S1_PKS0_PKT1_S3_blll.uses_vcc, 1
	.set _Z32nll_loss_forward_reduce2d_kernelIffiLi128EEvPT_S1_PKS0_PKT1_S3_blll.uses_flat_scratch, 0
	.set _Z32nll_loss_forward_reduce2d_kernelIffiLi128EEvPT_S1_PKS0_PKT1_S3_blll.has_dyn_sized_stack, 0
	.set _Z32nll_loss_forward_reduce2d_kernelIffiLi128EEvPT_S1_PKS0_PKT1_S3_blll.has_recursion, 0
	.set _Z32nll_loss_forward_reduce2d_kernelIffiLi128EEvPT_S1_PKS0_PKT1_S3_blll.has_indirect_call, 0
	.section	.AMDGPU.csdata,"",@progbits
; Kernel info:
; codeLenInByte = 3040
; TotalNumSgprs: 32
; NumVgprs: 28
; NumAgprs: 0
; TotalNumVgprs: 28
; ScratchSize: 0
; MemoryBound: 0
; FloatMode: 240
; IeeeMode: 1
; LDSByteSize: 1024 bytes/workgroup (compile time only)
; SGPRBlocks: 3
; VGPRBlocks: 3
; NumSGPRsForWavesPerEU: 32
; NumVGPRsForWavesPerEU: 28
; AccumOffset: 28
; Occupancy: 8
; WaveLimiterHint : 1
; COMPUTE_PGM_RSRC2:SCRATCH_EN: 0
; COMPUTE_PGM_RSRC2:USER_SGPR: 2
; COMPUTE_PGM_RSRC2:TRAP_HANDLER: 0
; COMPUTE_PGM_RSRC2:TGID_X_EN: 1
; COMPUTE_PGM_RSRC2:TGID_Y_EN: 0
; COMPUTE_PGM_RSRC2:TGID_Z_EN: 0
; COMPUTE_PGM_RSRC2:TIDIG_COMP_CNT: 0
; COMPUTE_PGM_RSRC3_GFX90A:ACCUM_OFFSET: 6
; COMPUTE_PGM_RSRC3_GFX90A:TG_SPLIT: 0
	.section	.text._Z32nll_loss_forward_reduce2d_kernelIffiLi256EEvPT_S1_PKS0_PKT1_S3_blll,"axG",@progbits,_Z32nll_loss_forward_reduce2d_kernelIffiLi256EEvPT_S1_PKS0_PKT1_S3_blll,comdat
	.protected	_Z32nll_loss_forward_reduce2d_kernelIffiLi256EEvPT_S1_PKS0_PKT1_S3_blll ; -- Begin function _Z32nll_loss_forward_reduce2d_kernelIffiLi256EEvPT_S1_PKS0_PKT1_S3_blll
	.globl	_Z32nll_loss_forward_reduce2d_kernelIffiLi256EEvPT_S1_PKS0_PKT1_S3_blll
	.p2align	8
	.type	_Z32nll_loss_forward_reduce2d_kernelIffiLi256EEvPT_S1_PKS0_PKT1_S3_blll,@function
_Z32nll_loss_forward_reduce2d_kernelIffiLi256EEvPT_S1_PKS0_PKT1_S3_blll: ; @_Z32nll_loss_forward_reduce2d_kernelIffiLi256EEvPT_S1_PKS0_PKT1_S3_blll
; %bb.0:
	s_load_dwordx4 s[8:11], s[0:1], 0x30
	s_load_dwordx4 s[4:7], s[0:1], 0x0
	v_mov_b32_e32 v1, 0
	v_lshlrev_b32_e32 v10, 2, v0
	ds_write2st64_b32 v10, v1, v1 offset1:4
	s_waitcnt lgkmcnt(0)
	v_cmp_gt_i64_e32 vcc, s[8:9], v[0:1]
	s_and_saveexec_b64 s[12:13], vcc
	s_cbranch_execz .LBB2_8
; %bb.1:
	s_load_dwordx2 s[14:15], s[0:1], 0x20
	s_load_dwordx4 s[20:23], s[0:1], 0x10
	s_load_dwordx2 s[16:17], s[0:1], 0x40
	v_mad_u64_u32 v[2:3], s[24:25], s10, v0, 0
	s_waitcnt lgkmcnt(0)
	s_cmp_lg_u64 s[14:15], 0
	v_mov_b32_e32 v4, v3
	s_cselect_b64 s[2:3], -1, 0
	v_mad_u64_u32 v[4:5], s[24:25], s11, v0, v[4:5]
	v_mov_b32_e32 v3, v4
	v_lshlrev_b32_e32 v4, 2, v0
	v_mov_b32_e32 v5, v1
	v_cndmask_b32_e64 v6, 0, 1, s[2:3]
	v_add_u32_e32 v11, 0x400, v10
	s_mov_b64 s[18:19], 0
	v_lshl_add_u64 v[2:3], v[2:3], 2, s[20:21]
	s_lshl_b64 s[10:11], s[10:11], 10
	v_lshl_add_u64 v[4:5], s[22:23], 0, v[4:5]
	v_cmp_ne_u32_e64 s[2:3], 1, v6
	s_mov_b64 s[20:21], 0x100
	s_mov_b64 s[22:23], 0x400
	v_mov_b32_e32 v12, v1
	v_mov_b64_e32 v[6:7], v[0:1]
	s_branch .LBB2_5
.LBB2_2:                                ;   in Loop: Header=BB2_5 Depth=1
	v_lshl_add_u64 v[14:15], v[8:9], 2, s[14:15]
	global_load_dword v13, v[14:15], off
.LBB2_3:                                ;   in Loop: Header=BB2_5 Depth=1
	v_lshl_add_u64 v[8:9], v[8:9], 2, v[2:3]
	global_load_dword v8, v[8:9], off
	s_waitcnt vmcnt(1)
	v_add_f32_e32 v1, v13, v1
	s_waitcnt vmcnt(0)
	v_fma_f32 v12, -v13, v8, v12
	ds_write_b32 v11, v12
	ds_write_b32 v10, v1
.LBB2_4:                                ;   in Loop: Header=BB2_5 Depth=1
	s_or_b64 exec, exec, s[24:25]
	v_lshl_add_u64 v[6:7], v[6:7], 0, s[20:21]
	v_cmp_le_i64_e32 vcc, s[8:9], v[6:7]
	v_lshl_add_u64 v[2:3], v[2:3], 0, s[10:11]
	s_or_b64 s[18:19], vcc, s[18:19]
	v_lshl_add_u64 v[4:5], v[4:5], 0, s[22:23]
	s_andn2_b64 exec, exec, s[18:19]
	s_cbranch_execz .LBB2_8
.LBB2_5:                                ; =>This Inner Loop Header: Depth=1
	global_load_dword v8, v[4:5], off
	s_waitcnt vmcnt(0)
	v_ashrrev_i32_e32 v9, 31, v8
	v_cmp_ne_u64_e32 vcc, s[16:17], v[8:9]
	s_and_saveexec_b64 s[24:25], vcc
	s_cbranch_execz .LBB2_4
; %bb.6:                                ;   in Loop: Header=BB2_5 Depth=1
	s_and_b64 vcc, exec, s[2:3]
	s_cbranch_vccz .LBB2_2
; %bb.7:                                ;   in Loop: Header=BB2_5 Depth=1
	v_mov_b32_e32 v13, 1.0
	s_branch .LBB2_3
.LBB2_8:
	s_or_b64 exec, exec, s[12:13]
; %bb.9:
	s_mov_b32 s2, 0
	v_cmp_eq_u32_e32 vcc, 0, v0
	s_waitcnt lgkmcnt(0)
	s_barrier
	s_and_saveexec_b64 s[8:9], vcc
	s_cbranch_execz .LBB2_13
; %bb.10:
	v_mov_b32_e32 v1, 0
	v_mov_b32_e32 v0, 0
.LBB2_11:                               ; =>This Inner Loop Header: Depth=1
	v_mov_b32_e32 v30, s2
	ds_read_b128 v[2:5], v30
	ds_read_b128 v[6:9], v30 offset:16
	ds_read_b128 v[10:13], v30 offset:32
	;; [unrolled: 1-line block ×7, first 2 shown]
	s_waitcnt lgkmcnt(7)
	v_mov_b32_e32 v34, v2
	s_waitcnt lgkmcnt(3)
	v_mov_b32_e32 v35, v18
	v_mov_b32_e32 v18, v3
	v_pk_add_f32 v[0:1], v[0:1], v[34:35]
	v_mov_b32_e32 v2, v4
	v_mov_b32_e32 v3, v20
	v_pk_add_f32 v[0:1], v[0:1], v[18:19]
	v_mov_b32_e32 v20, v5
	v_pk_add_f32 v[0:1], v[0:1], v[2:3]
	v_mov_b32_e32 v4, v6
	s_waitcnt lgkmcnt(2)
	v_mov_b32_e32 v5, v22
	v_pk_add_f32 v[0:1], v[0:1], v[20:21]
	v_mov_b32_e32 v22, v7
	v_pk_add_f32 v[0:1], v[0:1], v[4:5]
	v_mov_b32_e32 v6, v8
	v_mov_b32_e32 v7, v24
	v_pk_add_f32 v[0:1], v[0:1], v[22:23]
	v_mov_b32_e32 v24, v9
	v_pk_add_f32 v[0:1], v[0:1], v[6:7]
	v_mov_b32_e32 v8, v10
	s_waitcnt lgkmcnt(1)
	v_mov_b32_e32 v9, v26
	v_pk_add_f32 v[0:1], v[0:1], v[24:25]
	v_mov_b32_e32 v26, v11
	v_pk_add_f32 v[0:1], v[0:1], v[8:9]
	v_mov_b32_e32 v10, v12
	v_mov_b32_e32 v11, v28
	v_pk_add_f32 v[0:1], v[0:1], v[26:27]
	v_mov_b32_e32 v28, v13
	v_pk_add_f32 v[0:1], v[0:1], v[10:11]
	v_mov_b32_e32 v12, v14
	s_waitcnt lgkmcnt(0)
	v_mov_b32_e32 v13, v30
	v_pk_add_f32 v[0:1], v[0:1], v[28:29]
	v_mov_b32_e32 v30, v15
	v_pk_add_f32 v[0:1], v[0:1], v[12:13]
	v_mov_b32_e32 v14, v16
	v_mov_b32_e32 v15, v32
	v_pk_add_f32 v[0:1], v[0:1], v[30:31]
	s_add_i32 s2, s2, 64
	v_mov_b32_e32 v32, v17
	v_pk_add_f32 v[0:1], v[0:1], v[14:15]
	s_cmpk_eq_i32 s2, 0x400
	v_pk_add_f32 v[0:1], v[0:1], v[32:33]
	s_cbranch_scc0 .LBB2_11
; %bb.12:
	s_load_dword s2, s[0:1], 0x28
	v_div_scale_f32 v2, s[0:1], v0, v0, v1
	v_rcp_f32_e32 v3, v2
	v_mov_b32_e32 v4, 0
	s_waitcnt lgkmcnt(0)
	s_bitcmp1_b32 s2, 0
	global_store_dword v4, v0, s[6:7]
	v_fma_f32 v5, -v2, v3, 1.0
	v_fmac_f32_e32 v3, v5, v3
	v_div_scale_f32 v5, vcc, v1, v0, v1
	v_mul_f32_e32 v6, v5, v3
	v_fma_f32 v7, -v2, v6, v5
	v_fmac_f32_e32 v6, v7, v3
	v_fma_f32 v2, -v2, v6, v5
	v_div_fmas_f32 v2, v2, v3, v6
	v_div_fixup_f32 v0, v2, v0, v1
	s_cselect_b64 vcc, -1, 0
	v_cndmask_b32_e32 v0, v1, v0, vcc
	global_store_dword v4, v0, s[4:5]
.LBB2_13:
	s_endpgm
	.section	.rodata,"a",@progbits
	.p2align	6, 0x0
	.amdhsa_kernel _Z32nll_loss_forward_reduce2d_kernelIffiLi256EEvPT_S1_PKS0_PKT1_S3_blll
		.amdhsa_group_segment_fixed_size 2048
		.amdhsa_private_segment_fixed_size 0
		.amdhsa_kernarg_size 72
		.amdhsa_user_sgpr_count 2
		.amdhsa_user_sgpr_dispatch_ptr 0
		.amdhsa_user_sgpr_queue_ptr 0
		.amdhsa_user_sgpr_kernarg_segment_ptr 1
		.amdhsa_user_sgpr_dispatch_id 0
		.amdhsa_user_sgpr_kernarg_preload_length 0
		.amdhsa_user_sgpr_kernarg_preload_offset 0
		.amdhsa_user_sgpr_private_segment_size 0
		.amdhsa_uses_dynamic_stack 0
		.amdhsa_enable_private_segment 0
		.amdhsa_system_sgpr_workgroup_id_x 1
		.amdhsa_system_sgpr_workgroup_id_y 0
		.amdhsa_system_sgpr_workgroup_id_z 0
		.amdhsa_system_sgpr_workgroup_info 0
		.amdhsa_system_vgpr_workitem_id 0
		.amdhsa_next_free_vgpr 36
		.amdhsa_next_free_sgpr 26
		.amdhsa_accum_offset 36
		.amdhsa_reserve_vcc 1
		.amdhsa_float_round_mode_32 0
		.amdhsa_float_round_mode_16_64 0
		.amdhsa_float_denorm_mode_32 3
		.amdhsa_float_denorm_mode_16_64 3
		.amdhsa_dx10_clamp 1
		.amdhsa_ieee_mode 1
		.amdhsa_fp16_overflow 0
		.amdhsa_tg_split 0
		.amdhsa_exception_fp_ieee_invalid_op 0
		.amdhsa_exception_fp_denorm_src 0
		.amdhsa_exception_fp_ieee_div_zero 0
		.amdhsa_exception_fp_ieee_overflow 0
		.amdhsa_exception_fp_ieee_underflow 0
		.amdhsa_exception_fp_ieee_inexact 0
		.amdhsa_exception_int_div_zero 0
	.end_amdhsa_kernel
	.section	.text._Z32nll_loss_forward_reduce2d_kernelIffiLi256EEvPT_S1_PKS0_PKT1_S3_blll,"axG",@progbits,_Z32nll_loss_forward_reduce2d_kernelIffiLi256EEvPT_S1_PKS0_PKT1_S3_blll,comdat
.Lfunc_end2:
	.size	_Z32nll_loss_forward_reduce2d_kernelIffiLi256EEvPT_S1_PKS0_PKT1_S3_blll, .Lfunc_end2-_Z32nll_loss_forward_reduce2d_kernelIffiLi256EEvPT_S1_PKS0_PKT1_S3_blll
                                        ; -- End function
	.set _Z32nll_loss_forward_reduce2d_kernelIffiLi256EEvPT_S1_PKS0_PKT1_S3_blll.num_vgpr, 36
	.set _Z32nll_loss_forward_reduce2d_kernelIffiLi256EEvPT_S1_PKS0_PKT1_S3_blll.num_agpr, 0
	.set _Z32nll_loss_forward_reduce2d_kernelIffiLi256EEvPT_S1_PKS0_PKT1_S3_blll.numbered_sgpr, 26
	.set _Z32nll_loss_forward_reduce2d_kernelIffiLi256EEvPT_S1_PKS0_PKT1_S3_blll.num_named_barrier, 0
	.set _Z32nll_loss_forward_reduce2d_kernelIffiLi256EEvPT_S1_PKS0_PKT1_S3_blll.private_seg_size, 0
	.set _Z32nll_loss_forward_reduce2d_kernelIffiLi256EEvPT_S1_PKS0_PKT1_S3_blll.uses_vcc, 1
	.set _Z32nll_loss_forward_reduce2d_kernelIffiLi256EEvPT_S1_PKS0_PKT1_S3_blll.uses_flat_scratch, 0
	.set _Z32nll_loss_forward_reduce2d_kernelIffiLi256EEvPT_S1_PKS0_PKT1_S3_blll.has_dyn_sized_stack, 0
	.set _Z32nll_loss_forward_reduce2d_kernelIffiLi256EEvPT_S1_PKS0_PKT1_S3_blll.has_recursion, 0
	.set _Z32nll_loss_forward_reduce2d_kernelIffiLi256EEvPT_S1_PKS0_PKT1_S3_blll.has_indirect_call, 0
	.section	.AMDGPU.csdata,"",@progbits
; Kernel info:
; codeLenInByte = 828
; TotalNumSgprs: 32
; NumVgprs: 36
; NumAgprs: 0
; TotalNumVgprs: 36
; ScratchSize: 0
; MemoryBound: 0
; FloatMode: 240
; IeeeMode: 1
; LDSByteSize: 2048 bytes/workgroup (compile time only)
; SGPRBlocks: 3
; VGPRBlocks: 4
; NumSGPRsForWavesPerEU: 32
; NumVGPRsForWavesPerEU: 36
; AccumOffset: 36
; Occupancy: 8
; WaveLimiterHint : 1
; COMPUTE_PGM_RSRC2:SCRATCH_EN: 0
; COMPUTE_PGM_RSRC2:USER_SGPR: 2
; COMPUTE_PGM_RSRC2:TRAP_HANDLER: 0
; COMPUTE_PGM_RSRC2:TGID_X_EN: 1
; COMPUTE_PGM_RSRC2:TGID_Y_EN: 0
; COMPUTE_PGM_RSRC2:TGID_Z_EN: 0
; COMPUTE_PGM_RSRC2:TIDIG_COMP_CNT: 0
; COMPUTE_PGM_RSRC3_GFX90A:ACCUM_OFFSET: 8
; COMPUTE_PGM_RSRC3_GFX90A:TG_SPLIT: 0
	.section	.text._Z32nll_loss_forward_reduce2d_kernelIffiLi512EEvPT_S1_PKS0_PKT1_S3_blll,"axG",@progbits,_Z32nll_loss_forward_reduce2d_kernelIffiLi512EEvPT_S1_PKS0_PKT1_S3_blll,comdat
	.protected	_Z32nll_loss_forward_reduce2d_kernelIffiLi512EEvPT_S1_PKS0_PKT1_S3_blll ; -- Begin function _Z32nll_loss_forward_reduce2d_kernelIffiLi512EEvPT_S1_PKS0_PKT1_S3_blll
	.globl	_Z32nll_loss_forward_reduce2d_kernelIffiLi512EEvPT_S1_PKS0_PKT1_S3_blll
	.p2align	8
	.type	_Z32nll_loss_forward_reduce2d_kernelIffiLi512EEvPT_S1_PKS0_PKT1_S3_blll,@function
_Z32nll_loss_forward_reduce2d_kernelIffiLi512EEvPT_S1_PKS0_PKT1_S3_blll: ; @_Z32nll_loss_forward_reduce2d_kernelIffiLi512EEvPT_S1_PKS0_PKT1_S3_blll
; %bb.0:
	s_load_dwordx4 s[8:11], s[0:1], 0x30
	s_load_dwordx4 s[4:7], s[0:1], 0x0
	v_mov_b32_e32 v1, 0
	v_lshlrev_b32_e32 v10, 2, v0
	ds_write2st64_b32 v10, v1, v1 offset1:8
	s_waitcnt lgkmcnt(0)
	v_cmp_gt_i64_e32 vcc, s[8:9], v[0:1]
	s_and_saveexec_b64 s[12:13], vcc
	s_cbranch_execz .LBB3_8
; %bb.1:
	s_load_dwordx2 s[14:15], s[0:1], 0x20
	s_load_dwordx4 s[20:23], s[0:1], 0x10
	s_load_dwordx2 s[16:17], s[0:1], 0x40
	v_mad_u64_u32 v[2:3], s[24:25], s10, v0, 0
	s_waitcnt lgkmcnt(0)
	s_cmp_lg_u64 s[14:15], 0
	v_mov_b32_e32 v4, v3
	s_cselect_b64 s[2:3], -1, 0
	v_mad_u64_u32 v[4:5], s[24:25], s11, v0, v[4:5]
	v_mov_b32_e32 v3, v4
	v_lshlrev_b32_e32 v4, 2, v0
	v_mov_b32_e32 v5, v1
	v_cndmask_b32_e64 v6, 0, 1, s[2:3]
	v_add_u32_e32 v11, 0x800, v10
	s_mov_b64 s[18:19], 0
	v_lshl_add_u64 v[2:3], v[2:3], 2, s[20:21]
	s_lshl_b64 s[10:11], s[10:11], 11
	v_lshl_add_u64 v[4:5], s[22:23], 0, v[4:5]
	v_cmp_ne_u32_e64 s[2:3], 1, v6
	s_mov_b64 s[20:21], 0x200
	s_mov_b64 s[22:23], 0x800
	v_mov_b32_e32 v12, v1
	v_mov_b64_e32 v[6:7], v[0:1]
	s_branch .LBB3_5
.LBB3_2:                                ;   in Loop: Header=BB3_5 Depth=1
	v_lshl_add_u64 v[14:15], v[8:9], 2, s[14:15]
	global_load_dword v13, v[14:15], off
.LBB3_3:                                ;   in Loop: Header=BB3_5 Depth=1
	v_lshl_add_u64 v[8:9], v[8:9], 2, v[2:3]
	global_load_dword v8, v[8:9], off
	s_waitcnt vmcnt(1)
	v_add_f32_e32 v1, v13, v1
	s_waitcnt vmcnt(0)
	v_fma_f32 v12, -v13, v8, v12
	ds_write_b32 v11, v12
	ds_write_b32 v10, v1
.LBB3_4:                                ;   in Loop: Header=BB3_5 Depth=1
	s_or_b64 exec, exec, s[24:25]
	v_lshl_add_u64 v[6:7], v[6:7], 0, s[20:21]
	v_cmp_le_i64_e32 vcc, s[8:9], v[6:7]
	v_lshl_add_u64 v[2:3], v[2:3], 0, s[10:11]
	s_or_b64 s[18:19], vcc, s[18:19]
	v_lshl_add_u64 v[4:5], v[4:5], 0, s[22:23]
	s_andn2_b64 exec, exec, s[18:19]
	s_cbranch_execz .LBB3_8
.LBB3_5:                                ; =>This Inner Loop Header: Depth=1
	global_load_dword v8, v[4:5], off
	s_waitcnt vmcnt(0)
	v_ashrrev_i32_e32 v9, 31, v8
	v_cmp_ne_u64_e32 vcc, s[16:17], v[8:9]
	s_and_saveexec_b64 s[24:25], vcc
	s_cbranch_execz .LBB3_4
; %bb.6:                                ;   in Loop: Header=BB3_5 Depth=1
	s_and_b64 vcc, exec, s[2:3]
	s_cbranch_vccz .LBB3_2
; %bb.7:                                ;   in Loop: Header=BB3_5 Depth=1
	v_mov_b32_e32 v13, 1.0
	s_branch .LBB3_3
.LBB3_8:
	s_or_b64 exec, exec, s[12:13]
; %bb.9:
	s_mov_b32 s2, 0
	v_cmp_eq_u32_e32 vcc, 0, v0
	s_waitcnt lgkmcnt(0)
	s_barrier
	s_and_saveexec_b64 s[8:9], vcc
	s_cbranch_execz .LBB3_13
; %bb.10:
	v_mov_b32_e32 v1, 0
	v_mov_b32_e32 v0, 0
.LBB3_11:                               ; =>This Inner Loop Header: Depth=1
	v_mov_b32_e32 v30, s2
	ds_read_b128 v[2:5], v30
	ds_read_b128 v[6:9], v30 offset:16
	ds_read_b128 v[10:13], v30 offset:32
	;; [unrolled: 1-line block ×7, first 2 shown]
	s_waitcnt lgkmcnt(7)
	v_mov_b32_e32 v34, v2
	s_waitcnt lgkmcnt(3)
	v_mov_b32_e32 v35, v18
	v_mov_b32_e32 v18, v3
	v_pk_add_f32 v[0:1], v[0:1], v[34:35]
	v_mov_b32_e32 v2, v4
	v_mov_b32_e32 v3, v20
	v_pk_add_f32 v[0:1], v[0:1], v[18:19]
	v_mov_b32_e32 v20, v5
	v_pk_add_f32 v[0:1], v[0:1], v[2:3]
	v_mov_b32_e32 v4, v6
	s_waitcnt lgkmcnt(2)
	v_mov_b32_e32 v5, v22
	v_pk_add_f32 v[0:1], v[0:1], v[20:21]
	v_mov_b32_e32 v22, v7
	v_pk_add_f32 v[0:1], v[0:1], v[4:5]
	v_mov_b32_e32 v6, v8
	v_mov_b32_e32 v7, v24
	v_pk_add_f32 v[0:1], v[0:1], v[22:23]
	v_mov_b32_e32 v24, v9
	v_pk_add_f32 v[0:1], v[0:1], v[6:7]
	v_mov_b32_e32 v8, v10
	s_waitcnt lgkmcnt(1)
	v_mov_b32_e32 v9, v26
	v_pk_add_f32 v[0:1], v[0:1], v[24:25]
	;; [unrolled: 11-line block ×3, first 2 shown]
	v_mov_b32_e32 v30, v15
	v_pk_add_f32 v[0:1], v[0:1], v[12:13]
	v_mov_b32_e32 v14, v16
	v_mov_b32_e32 v15, v32
	v_pk_add_f32 v[0:1], v[0:1], v[30:31]
	s_add_i32 s2, s2, 64
	v_mov_b32_e32 v32, v17
	v_pk_add_f32 v[0:1], v[0:1], v[14:15]
	s_cmpk_eq_i32 s2, 0x800
	v_pk_add_f32 v[0:1], v[0:1], v[32:33]
	s_cbranch_scc0 .LBB3_11
; %bb.12:
	s_load_dword s2, s[0:1], 0x28
	v_div_scale_f32 v2, s[0:1], v0, v0, v1
	v_rcp_f32_e32 v3, v2
	v_mov_b32_e32 v4, 0
	s_waitcnt lgkmcnt(0)
	s_bitcmp1_b32 s2, 0
	global_store_dword v4, v0, s[6:7]
	v_fma_f32 v5, -v2, v3, 1.0
	v_fmac_f32_e32 v3, v5, v3
	v_div_scale_f32 v5, vcc, v1, v0, v1
	v_mul_f32_e32 v6, v5, v3
	v_fma_f32 v7, -v2, v6, v5
	v_fmac_f32_e32 v6, v7, v3
	v_fma_f32 v2, -v2, v6, v5
	v_div_fmas_f32 v2, v2, v3, v6
	v_div_fixup_f32 v0, v2, v0, v1
	s_cselect_b64 vcc, -1, 0
	v_cndmask_b32_e32 v0, v1, v0, vcc
	global_store_dword v4, v0, s[4:5]
.LBB3_13:
	s_endpgm
	.section	.rodata,"a",@progbits
	.p2align	6, 0x0
	.amdhsa_kernel _Z32nll_loss_forward_reduce2d_kernelIffiLi512EEvPT_S1_PKS0_PKT1_S3_blll
		.amdhsa_group_segment_fixed_size 4096
		.amdhsa_private_segment_fixed_size 0
		.amdhsa_kernarg_size 72
		.amdhsa_user_sgpr_count 2
		.amdhsa_user_sgpr_dispatch_ptr 0
		.amdhsa_user_sgpr_queue_ptr 0
		.amdhsa_user_sgpr_kernarg_segment_ptr 1
		.amdhsa_user_sgpr_dispatch_id 0
		.amdhsa_user_sgpr_kernarg_preload_length 0
		.amdhsa_user_sgpr_kernarg_preload_offset 0
		.amdhsa_user_sgpr_private_segment_size 0
		.amdhsa_uses_dynamic_stack 0
		.amdhsa_enable_private_segment 0
		.amdhsa_system_sgpr_workgroup_id_x 1
		.amdhsa_system_sgpr_workgroup_id_y 0
		.amdhsa_system_sgpr_workgroup_id_z 0
		.amdhsa_system_sgpr_workgroup_info 0
		.amdhsa_system_vgpr_workitem_id 0
		.amdhsa_next_free_vgpr 36
		.amdhsa_next_free_sgpr 26
		.amdhsa_accum_offset 36
		.amdhsa_reserve_vcc 1
		.amdhsa_float_round_mode_32 0
		.amdhsa_float_round_mode_16_64 0
		.amdhsa_float_denorm_mode_32 3
		.amdhsa_float_denorm_mode_16_64 3
		.amdhsa_dx10_clamp 1
		.amdhsa_ieee_mode 1
		.amdhsa_fp16_overflow 0
		.amdhsa_tg_split 0
		.amdhsa_exception_fp_ieee_invalid_op 0
		.amdhsa_exception_fp_denorm_src 0
		.amdhsa_exception_fp_ieee_div_zero 0
		.amdhsa_exception_fp_ieee_overflow 0
		.amdhsa_exception_fp_ieee_underflow 0
		.amdhsa_exception_fp_ieee_inexact 0
		.amdhsa_exception_int_div_zero 0
	.end_amdhsa_kernel
	.section	.text._Z32nll_loss_forward_reduce2d_kernelIffiLi512EEvPT_S1_PKS0_PKT1_S3_blll,"axG",@progbits,_Z32nll_loss_forward_reduce2d_kernelIffiLi512EEvPT_S1_PKS0_PKT1_S3_blll,comdat
.Lfunc_end3:
	.size	_Z32nll_loss_forward_reduce2d_kernelIffiLi512EEvPT_S1_PKS0_PKT1_S3_blll, .Lfunc_end3-_Z32nll_loss_forward_reduce2d_kernelIffiLi512EEvPT_S1_PKS0_PKT1_S3_blll
                                        ; -- End function
	.set _Z32nll_loss_forward_reduce2d_kernelIffiLi512EEvPT_S1_PKS0_PKT1_S3_blll.num_vgpr, 36
	.set _Z32nll_loss_forward_reduce2d_kernelIffiLi512EEvPT_S1_PKS0_PKT1_S3_blll.num_agpr, 0
	.set _Z32nll_loss_forward_reduce2d_kernelIffiLi512EEvPT_S1_PKS0_PKT1_S3_blll.numbered_sgpr, 26
	.set _Z32nll_loss_forward_reduce2d_kernelIffiLi512EEvPT_S1_PKS0_PKT1_S3_blll.num_named_barrier, 0
	.set _Z32nll_loss_forward_reduce2d_kernelIffiLi512EEvPT_S1_PKS0_PKT1_S3_blll.private_seg_size, 0
	.set _Z32nll_loss_forward_reduce2d_kernelIffiLi512EEvPT_S1_PKS0_PKT1_S3_blll.uses_vcc, 1
	.set _Z32nll_loss_forward_reduce2d_kernelIffiLi512EEvPT_S1_PKS0_PKT1_S3_blll.uses_flat_scratch, 0
	.set _Z32nll_loss_forward_reduce2d_kernelIffiLi512EEvPT_S1_PKS0_PKT1_S3_blll.has_dyn_sized_stack, 0
	.set _Z32nll_loss_forward_reduce2d_kernelIffiLi512EEvPT_S1_PKS0_PKT1_S3_blll.has_recursion, 0
	.set _Z32nll_loss_forward_reduce2d_kernelIffiLi512EEvPT_S1_PKS0_PKT1_S3_blll.has_indirect_call, 0
	.section	.AMDGPU.csdata,"",@progbits
; Kernel info:
; codeLenInByte = 828
; TotalNumSgprs: 32
; NumVgprs: 36
; NumAgprs: 0
; TotalNumVgprs: 36
; ScratchSize: 0
; MemoryBound: 0
; FloatMode: 240
; IeeeMode: 1
; LDSByteSize: 4096 bytes/workgroup (compile time only)
; SGPRBlocks: 3
; VGPRBlocks: 4
; NumSGPRsForWavesPerEU: 32
; NumVGPRsForWavesPerEU: 36
; AccumOffset: 36
; Occupancy: 8
; WaveLimiterHint : 1
; COMPUTE_PGM_RSRC2:SCRATCH_EN: 0
; COMPUTE_PGM_RSRC2:USER_SGPR: 2
; COMPUTE_PGM_RSRC2:TRAP_HANDLER: 0
; COMPUTE_PGM_RSRC2:TGID_X_EN: 1
; COMPUTE_PGM_RSRC2:TGID_Y_EN: 0
; COMPUTE_PGM_RSRC2:TGID_Z_EN: 0
; COMPUTE_PGM_RSRC2:TIDIG_COMP_CNT: 0
; COMPUTE_PGM_RSRC3_GFX90A:ACCUM_OFFSET: 8
; COMPUTE_PGM_RSRC3_GFX90A:TG_SPLIT: 0
	.section	.text._Z32nll_loss_forward_reduce2d_kernelIffiLi1024EEvPT_S1_PKS0_PKT1_S3_blll,"axG",@progbits,_Z32nll_loss_forward_reduce2d_kernelIffiLi1024EEvPT_S1_PKS0_PKT1_S3_blll,comdat
	.protected	_Z32nll_loss_forward_reduce2d_kernelIffiLi1024EEvPT_S1_PKS0_PKT1_S3_blll ; -- Begin function _Z32nll_loss_forward_reduce2d_kernelIffiLi1024EEvPT_S1_PKS0_PKT1_S3_blll
	.globl	_Z32nll_loss_forward_reduce2d_kernelIffiLi1024EEvPT_S1_PKS0_PKT1_S3_blll
	.p2align	8
	.type	_Z32nll_loss_forward_reduce2d_kernelIffiLi1024EEvPT_S1_PKS0_PKT1_S3_blll,@function
_Z32nll_loss_forward_reduce2d_kernelIffiLi1024EEvPT_S1_PKS0_PKT1_S3_blll: ; @_Z32nll_loss_forward_reduce2d_kernelIffiLi1024EEvPT_S1_PKS0_PKT1_S3_blll
; %bb.0:
	s_load_dwordx4 s[8:11], s[0:1], 0x30
	s_load_dwordx4 s[4:7], s[0:1], 0x0
	v_mov_b32_e32 v1, 0
	v_lshlrev_b32_e32 v10, 2, v0
	ds_write2st64_b32 v10, v1, v1 offset1:16
	s_waitcnt lgkmcnt(0)
	v_cmp_gt_i64_e32 vcc, s[8:9], v[0:1]
	s_and_saveexec_b64 s[12:13], vcc
	s_cbranch_execz .LBB4_8
; %bb.1:
	s_load_dwordx2 s[14:15], s[0:1], 0x20
	s_load_dwordx4 s[20:23], s[0:1], 0x10
	s_load_dwordx2 s[16:17], s[0:1], 0x40
	v_mad_u64_u32 v[2:3], s[24:25], s10, v0, 0
	s_waitcnt lgkmcnt(0)
	s_cmp_lg_u64 s[14:15], 0
	v_mov_b32_e32 v4, v3
	s_cselect_b64 s[2:3], -1, 0
	v_mad_u64_u32 v[4:5], s[24:25], s11, v0, v[4:5]
	v_mov_b32_e32 v3, v4
	v_lshlrev_b32_e32 v4, 2, v0
	v_mov_b32_e32 v5, v1
	v_cndmask_b32_e64 v6, 0, 1, s[2:3]
	v_or_b32_e32 v11, 0x1000, v10
	s_mov_b64 s[18:19], 0
	v_lshl_add_u64 v[2:3], v[2:3], 2, s[20:21]
	s_lshl_b64 s[10:11], s[10:11], 12
	v_lshl_add_u64 v[4:5], s[22:23], 0, v[4:5]
	v_cmp_ne_u32_e64 s[2:3], 1, v6
	s_mov_b64 s[20:21], 0x400
	s_mov_b64 s[22:23], 0x1000
	v_mov_b32_e32 v12, v1
	v_mov_b64_e32 v[6:7], v[0:1]
	s_branch .LBB4_5
.LBB4_2:                                ;   in Loop: Header=BB4_5 Depth=1
	v_lshl_add_u64 v[14:15], v[8:9], 2, s[14:15]
	global_load_dword v13, v[14:15], off
.LBB4_3:                                ;   in Loop: Header=BB4_5 Depth=1
	v_lshl_add_u64 v[8:9], v[8:9], 2, v[2:3]
	global_load_dword v8, v[8:9], off
	s_waitcnt vmcnt(1)
	v_add_f32_e32 v1, v13, v1
	s_waitcnt vmcnt(0)
	v_fma_f32 v12, -v13, v8, v12
	ds_write_b32 v11, v12
	ds_write_b32 v10, v1
.LBB4_4:                                ;   in Loop: Header=BB4_5 Depth=1
	s_or_b64 exec, exec, s[24:25]
	v_lshl_add_u64 v[6:7], v[6:7], 0, s[20:21]
	v_cmp_le_i64_e32 vcc, s[8:9], v[6:7]
	v_lshl_add_u64 v[2:3], v[2:3], 0, s[10:11]
	s_or_b64 s[18:19], vcc, s[18:19]
	v_lshl_add_u64 v[4:5], v[4:5], 0, s[22:23]
	s_andn2_b64 exec, exec, s[18:19]
	s_cbranch_execz .LBB4_8
.LBB4_5:                                ; =>This Inner Loop Header: Depth=1
	global_load_dword v8, v[4:5], off
	s_waitcnt vmcnt(0)
	v_ashrrev_i32_e32 v9, 31, v8
	v_cmp_ne_u64_e32 vcc, s[16:17], v[8:9]
	s_and_saveexec_b64 s[24:25], vcc
	s_cbranch_execz .LBB4_4
; %bb.6:                                ;   in Loop: Header=BB4_5 Depth=1
	s_and_b64 vcc, exec, s[2:3]
	s_cbranch_vccz .LBB4_2
; %bb.7:                                ;   in Loop: Header=BB4_5 Depth=1
	v_mov_b32_e32 v13, 1.0
	s_branch .LBB4_3
.LBB4_8:
	s_or_b64 exec, exec, s[12:13]
; %bb.9:
	s_mov_b32 s2, 0
	v_cmp_eq_u32_e32 vcc, 0, v0
	s_waitcnt lgkmcnt(0)
	s_barrier
	s_and_saveexec_b64 s[8:9], vcc
	s_cbranch_execz .LBB4_13
; %bb.10:
	v_mov_b32_e32 v1, 0
	v_mov_b32_e32 v0, 0
.LBB4_11:                               ; =>This Inner Loop Header: Depth=1
	v_mov_b32_e32 v30, s2
	ds_read_b128 v[2:5], v30
	ds_read_b128 v[6:9], v30 offset:16
	ds_read_b128 v[10:13], v30 offset:32
	;; [unrolled: 1-line block ×7, first 2 shown]
	s_waitcnt lgkmcnt(7)
	v_mov_b32_e32 v34, v2
	s_waitcnt lgkmcnt(3)
	v_mov_b32_e32 v35, v18
	v_mov_b32_e32 v18, v3
	v_pk_add_f32 v[0:1], v[0:1], v[34:35]
	v_mov_b32_e32 v2, v4
	v_mov_b32_e32 v3, v20
	v_pk_add_f32 v[0:1], v[0:1], v[18:19]
	v_mov_b32_e32 v20, v5
	v_pk_add_f32 v[0:1], v[0:1], v[2:3]
	v_mov_b32_e32 v4, v6
	s_waitcnt lgkmcnt(2)
	v_mov_b32_e32 v5, v22
	v_pk_add_f32 v[0:1], v[0:1], v[20:21]
	v_mov_b32_e32 v22, v7
	v_pk_add_f32 v[0:1], v[0:1], v[4:5]
	v_mov_b32_e32 v6, v8
	v_mov_b32_e32 v7, v24
	v_pk_add_f32 v[0:1], v[0:1], v[22:23]
	v_mov_b32_e32 v24, v9
	v_pk_add_f32 v[0:1], v[0:1], v[6:7]
	v_mov_b32_e32 v8, v10
	s_waitcnt lgkmcnt(1)
	v_mov_b32_e32 v9, v26
	v_pk_add_f32 v[0:1], v[0:1], v[24:25]
	;; [unrolled: 11-line block ×3, first 2 shown]
	v_mov_b32_e32 v30, v15
	v_pk_add_f32 v[0:1], v[0:1], v[12:13]
	v_mov_b32_e32 v14, v16
	v_mov_b32_e32 v15, v32
	v_pk_add_f32 v[0:1], v[0:1], v[30:31]
	s_add_i32 s2, s2, 64
	v_mov_b32_e32 v32, v17
	v_pk_add_f32 v[0:1], v[0:1], v[14:15]
	s_cmpk_eq_i32 s2, 0x1000
	v_pk_add_f32 v[0:1], v[0:1], v[32:33]
	s_cbranch_scc0 .LBB4_11
; %bb.12:
	s_load_dword s2, s[0:1], 0x28
	v_div_scale_f32 v2, s[0:1], v0, v0, v1
	v_rcp_f32_e32 v3, v2
	v_mov_b32_e32 v4, 0
	s_waitcnt lgkmcnt(0)
	s_bitcmp1_b32 s2, 0
	global_store_dword v4, v0, s[6:7]
	v_fma_f32 v5, -v2, v3, 1.0
	v_fmac_f32_e32 v3, v5, v3
	v_div_scale_f32 v5, vcc, v1, v0, v1
	v_mul_f32_e32 v6, v5, v3
	v_fma_f32 v7, -v2, v6, v5
	v_fmac_f32_e32 v6, v7, v3
	v_fma_f32 v2, -v2, v6, v5
	v_div_fmas_f32 v2, v2, v3, v6
	v_div_fixup_f32 v0, v2, v0, v1
	s_cselect_b64 vcc, -1, 0
	v_cndmask_b32_e32 v0, v1, v0, vcc
	global_store_dword v4, v0, s[4:5]
.LBB4_13:
	s_endpgm
	.section	.rodata,"a",@progbits
	.p2align	6, 0x0
	.amdhsa_kernel _Z32nll_loss_forward_reduce2d_kernelIffiLi1024EEvPT_S1_PKS0_PKT1_S3_blll
		.amdhsa_group_segment_fixed_size 8192
		.amdhsa_private_segment_fixed_size 0
		.amdhsa_kernarg_size 72
		.amdhsa_user_sgpr_count 2
		.amdhsa_user_sgpr_dispatch_ptr 0
		.amdhsa_user_sgpr_queue_ptr 0
		.amdhsa_user_sgpr_kernarg_segment_ptr 1
		.amdhsa_user_sgpr_dispatch_id 0
		.amdhsa_user_sgpr_kernarg_preload_length 0
		.amdhsa_user_sgpr_kernarg_preload_offset 0
		.amdhsa_user_sgpr_private_segment_size 0
		.amdhsa_uses_dynamic_stack 0
		.amdhsa_enable_private_segment 0
		.amdhsa_system_sgpr_workgroup_id_x 1
		.amdhsa_system_sgpr_workgroup_id_y 0
		.amdhsa_system_sgpr_workgroup_id_z 0
		.amdhsa_system_sgpr_workgroup_info 0
		.amdhsa_system_vgpr_workitem_id 0
		.amdhsa_next_free_vgpr 36
		.amdhsa_next_free_sgpr 26
		.amdhsa_accum_offset 36
		.amdhsa_reserve_vcc 1
		.amdhsa_float_round_mode_32 0
		.amdhsa_float_round_mode_16_64 0
		.amdhsa_float_denorm_mode_32 3
		.amdhsa_float_denorm_mode_16_64 3
		.amdhsa_dx10_clamp 1
		.amdhsa_ieee_mode 1
		.amdhsa_fp16_overflow 0
		.amdhsa_tg_split 0
		.amdhsa_exception_fp_ieee_invalid_op 0
		.amdhsa_exception_fp_denorm_src 0
		.amdhsa_exception_fp_ieee_div_zero 0
		.amdhsa_exception_fp_ieee_overflow 0
		.amdhsa_exception_fp_ieee_underflow 0
		.amdhsa_exception_fp_ieee_inexact 0
		.amdhsa_exception_int_div_zero 0
	.end_amdhsa_kernel
	.section	.text._Z32nll_loss_forward_reduce2d_kernelIffiLi1024EEvPT_S1_PKS0_PKT1_S3_blll,"axG",@progbits,_Z32nll_loss_forward_reduce2d_kernelIffiLi1024EEvPT_S1_PKS0_PKT1_S3_blll,comdat
.Lfunc_end4:
	.size	_Z32nll_loss_forward_reduce2d_kernelIffiLi1024EEvPT_S1_PKS0_PKT1_S3_blll, .Lfunc_end4-_Z32nll_loss_forward_reduce2d_kernelIffiLi1024EEvPT_S1_PKS0_PKT1_S3_blll
                                        ; -- End function
	.set _Z32nll_loss_forward_reduce2d_kernelIffiLi1024EEvPT_S1_PKS0_PKT1_S3_blll.num_vgpr, 36
	.set _Z32nll_loss_forward_reduce2d_kernelIffiLi1024EEvPT_S1_PKS0_PKT1_S3_blll.num_agpr, 0
	.set _Z32nll_loss_forward_reduce2d_kernelIffiLi1024EEvPT_S1_PKS0_PKT1_S3_blll.numbered_sgpr, 26
	.set _Z32nll_loss_forward_reduce2d_kernelIffiLi1024EEvPT_S1_PKS0_PKT1_S3_blll.num_named_barrier, 0
	.set _Z32nll_loss_forward_reduce2d_kernelIffiLi1024EEvPT_S1_PKS0_PKT1_S3_blll.private_seg_size, 0
	.set _Z32nll_loss_forward_reduce2d_kernelIffiLi1024EEvPT_S1_PKS0_PKT1_S3_blll.uses_vcc, 1
	.set _Z32nll_loss_forward_reduce2d_kernelIffiLi1024EEvPT_S1_PKS0_PKT1_S3_blll.uses_flat_scratch, 0
	.set _Z32nll_loss_forward_reduce2d_kernelIffiLi1024EEvPT_S1_PKS0_PKT1_S3_blll.has_dyn_sized_stack, 0
	.set _Z32nll_loss_forward_reduce2d_kernelIffiLi1024EEvPT_S1_PKS0_PKT1_S3_blll.has_recursion, 0
	.set _Z32nll_loss_forward_reduce2d_kernelIffiLi1024EEvPT_S1_PKS0_PKT1_S3_blll.has_indirect_call, 0
	.section	.AMDGPU.csdata,"",@progbits
; Kernel info:
; codeLenInByte = 828
; TotalNumSgprs: 32
; NumVgprs: 36
; NumAgprs: 0
; TotalNumVgprs: 36
; ScratchSize: 0
; MemoryBound: 0
; FloatMode: 240
; IeeeMode: 1
; LDSByteSize: 8192 bytes/workgroup (compile time only)
; SGPRBlocks: 3
; VGPRBlocks: 4
; NumSGPRsForWavesPerEU: 32
; NumVGPRsForWavesPerEU: 36
; AccumOffset: 36
; Occupancy: 8
; WaveLimiterHint : 1
; COMPUTE_PGM_RSRC2:SCRATCH_EN: 0
; COMPUTE_PGM_RSRC2:USER_SGPR: 2
; COMPUTE_PGM_RSRC2:TRAP_HANDLER: 0
; COMPUTE_PGM_RSRC2:TGID_X_EN: 1
; COMPUTE_PGM_RSRC2:TGID_Y_EN: 0
; COMPUTE_PGM_RSRC2:TGID_Z_EN: 0
; COMPUTE_PGM_RSRC2:TIDIG_COMP_CNT: 0
; COMPUTE_PGM_RSRC3_GFX90A:ACCUM_OFFSET: 8
; COMPUTE_PGM_RSRC3_GFX90A:TG_SPLIT: 0
	.section	.text._Z32nll_loss_forward_reduce2d_kernelI6__halfS0_iLi64EEvPT_S2_PKS1_PKT1_S4_blll,"axG",@progbits,_Z32nll_loss_forward_reduce2d_kernelI6__halfS0_iLi64EEvPT_S2_PKS1_PKT1_S4_blll,comdat
	.protected	_Z32nll_loss_forward_reduce2d_kernelI6__halfS0_iLi64EEvPT_S2_PKS1_PKT1_S4_blll ; -- Begin function _Z32nll_loss_forward_reduce2d_kernelI6__halfS0_iLi64EEvPT_S2_PKS1_PKT1_S4_blll
	.globl	_Z32nll_loss_forward_reduce2d_kernelI6__halfS0_iLi64EEvPT_S2_PKS1_PKT1_S4_blll
	.p2align	8
	.type	_Z32nll_loss_forward_reduce2d_kernelI6__halfS0_iLi64EEvPT_S2_PKS1_PKT1_S4_blll,@function
_Z32nll_loss_forward_reduce2d_kernelI6__halfS0_iLi64EEvPT_S2_PKS1_PKT1_S4_blll: ; @_Z32nll_loss_forward_reduce2d_kernelI6__halfS0_iLi64EEvPT_S2_PKS1_PKT1_S4_blll
; %bb.0:
	s_load_dwordx4 s[4:7], s[0:1], 0x0
	s_load_dwordx4 s[8:11], s[0:1], 0x30
	v_mov_b32_e32 v1, 0
	v_lshlrev_b32_e32 v10, 1, v0
	ds_write_b16 v10, v1 offset:128
	ds_write_b16 v10, v1
	s_waitcnt lgkmcnt(0)
	v_cmp_gt_i64_e32 vcc, s[8:9], v[0:1]
	s_and_saveexec_b64 s[12:13], vcc
	s_cbranch_execz .LBB5_8
; %bb.1:
	s_load_dwordx2 s[14:15], s[0:1], 0x20
	s_load_dwordx4 s[20:23], s[0:1], 0x10
	s_load_dwordx2 s[16:17], s[0:1], 0x40
	v_mad_u64_u32 v[2:3], s[24:25], s10, v0, 0
	s_waitcnt lgkmcnt(0)
	s_cmp_lg_u64 s[14:15], 0
	v_mov_b32_e32 v4, v3
	s_cselect_b64 s[2:3], -1, 0
	v_mad_u64_u32 v[4:5], s[24:25], s11, v0, v[4:5]
	v_mov_b32_e32 v3, v4
	v_lshlrev_b32_e32 v4, 2, v0
	v_mov_b32_e32 v5, v1
	v_cndmask_b32_e64 v6, 0, 1, s[2:3]
	v_add_u32_e32 v11, 0x80, v10
	s_mov_b64 s[18:19], 0
	v_lshl_add_u64 v[2:3], v[2:3], 1, s[20:21]
	s_lshl_b64 s[10:11], s[10:11], 7
	v_lshl_add_u64 v[4:5], s[22:23], 0, v[4:5]
	v_cmp_ne_u32_e64 s[2:3], 1, v6
	s_mov_b64 s[20:21], 0x100
	v_mov_b32_e32 v12, v1
	v_mov_b64_e32 v[6:7], v[0:1]
	s_branch .LBB5_5
.LBB5_2:                                ;   in Loop: Header=BB5_5 Depth=1
	v_lshl_add_u64 v[14:15], v[8:9], 1, s[14:15]
	global_load_ushort v13, v[14:15], off
.LBB5_3:                                ;   in Loop: Header=BB5_5 Depth=1
	v_lshl_add_u64 v[8:9], v[8:9], 1, v[2:3]
	global_load_ushort v8, v[8:9], off
	s_waitcnt vmcnt(1)
	v_add_f16_e32 v1, v13, v1
	s_waitcnt vmcnt(0)
	v_fma_f16 v12, -v13, v8, v12
	ds_write_b16 v11, v12
	ds_write_b16 v10, v1
.LBB5_4:                                ;   in Loop: Header=BB5_5 Depth=1
	s_or_b64 exec, exec, s[22:23]
	v_lshl_add_u64 v[6:7], v[6:7], 0, 64
	v_cmp_le_i64_e32 vcc, s[8:9], v[6:7]
	v_lshl_add_u64 v[2:3], v[2:3], 0, s[10:11]
	s_or_b64 s[18:19], vcc, s[18:19]
	v_lshl_add_u64 v[4:5], v[4:5], 0, s[20:21]
	s_andn2_b64 exec, exec, s[18:19]
	s_cbranch_execz .LBB5_8
.LBB5_5:                                ; =>This Inner Loop Header: Depth=1
	global_load_dword v8, v[4:5], off
	s_waitcnt vmcnt(0)
	v_ashrrev_i32_e32 v9, 31, v8
	v_cmp_ne_u64_e32 vcc, s[16:17], v[8:9]
	s_and_saveexec_b64 s[22:23], vcc
	s_cbranch_execz .LBB5_4
; %bb.6:                                ;   in Loop: Header=BB5_5 Depth=1
	s_and_b64 vcc, exec, s[2:3]
	s_cbranch_vccz .LBB5_2
; %bb.7:                                ;   in Loop: Header=BB5_5 Depth=1
	v_mov_b32_e32 v13, 0x3c00
	s_branch .LBB5_3
.LBB5_8:
	s_or_b64 exec, exec, s[12:13]
; %bb.9:
	v_cmp_eq_u32_e32 vcc, 0, v0
	s_waitcnt lgkmcnt(0)
	s_barrier
	s_and_saveexec_b64 s[2:3], vcc
	s_cbranch_execz .LBB5_11
; %bb.10:
	v_mov_b32_e32 v20, 0
	ds_read2_b32 v[12:13], v20 offset0:31 offset1:32
	ds_read_b128 v[8:11], v20
	ds_read_b128 v[4:7], v20 offset:16
	ds_read_u16 v24, v20 offset:32
	ds_read_b128 v[0:3], v20 offset:34
	ds_read_b32 v23, v20 offset:50
	ds_read_u16 v22, v20 offset:54
	ds_read2_b32 v[18:19], v20 offset0:33 offset1:34
	ds_read2_b32 v[14:15], v20 offset0:27 offset1:28
	;; [unrolled: 1-line block ×3, first 2 shown]
	v_mov_b32_e32 v21, 0xffff
	s_waitcnt lgkmcnt(9)
	v_and_b32_e32 v25, 0xffff, v13
	s_waitcnt lgkmcnt(8)
	v_lshl_or_b32 v25, v8, 16, v25
	v_lshrrev_b32_e32 v8, 16, v8
	v_and_b32_sdwa v13, v21, v13 dst_sel:DWORD dst_unused:UNUSED_PAD src0_sel:DWORD src1_sel:WORD_1
	v_pk_add_f16 v25, v25, 0
	v_lshl_or_b32 v8, v8, 16, v13
	s_waitcnt lgkmcnt(2)
	v_and_b32_e32 v13, 0xffff, v18
	v_pk_add_f16 v8, v25, v8
	v_lshl_or_b32 v13, v9, 16, v13
	v_pk_add_f16 v8, v8, v13
	v_lshrrev_b32_e32 v9, 16, v9
	v_and_b32_sdwa v13, v21, v18 dst_sel:DWORD dst_unused:UNUSED_PAD src0_sel:DWORD src1_sel:WORD_1
	v_lshl_or_b32 v9, v9, 16, v13
	v_pk_add_f16 v8, v8, v9
	v_and_b32_e32 v9, 0xffff, v19
	v_lshl_or_b32 v9, v10, 16, v9
	v_pk_add_f16 v13, v8, v9
	ds_read2_b32 v[8:9], v20 offset0:35 offset1:36
	v_lshrrev_b32_e32 v10, 16, v10
	v_and_b32_sdwa v18, v21, v19 dst_sel:DWORD dst_unused:UNUSED_PAD src0_sel:DWORD src1_sel:WORD_1
	v_lshl_or_b32 v10, v10, 16, v18
	v_pk_add_f16 v10, v13, v10
	s_waitcnt lgkmcnt(0)
	v_and_b32_e32 v13, 0xffff, v8
	ds_read2_b32 v[18:19], v20 offset0:39 offset1:40
	ds_read2_b32 v[26:27], v20 offset0:37 offset1:38
	v_lshl_or_b32 v13, v11, 16, v13
	v_lshrrev_b32_e32 v11, 16, v11
	v_and_b32_sdwa v8, v21, v8 dst_sel:DWORD dst_unused:UNUSED_PAD src0_sel:DWORD src1_sel:WORD_1
	v_pk_add_f16 v10, v10, v13
	v_lshl_or_b32 v8, v11, 16, v8
	v_pk_add_f16 v8, v10, v8
	v_and_b32_e32 v10, 0xffff, v9
	v_lshl_or_b32 v10, v4, 16, v10
	v_lshrrev_b32_e32 v4, 16, v4
	v_and_b32_sdwa v9, v21, v9 dst_sel:DWORD dst_unused:UNUSED_PAD src0_sel:DWORD src1_sel:WORD_1
	v_pk_add_f16 v8, v8, v10
	v_lshl_or_b32 v4, v4, 16, v9
	v_pk_add_f16 v4, v8, v4
	s_waitcnt lgkmcnt(0)
	v_and_b32_e32 v8, 0xffff, v26
	v_lshl_or_b32 v8, v5, 16, v8
	v_pk_add_f16 v4, v4, v8
	v_lshrrev_b32_e32 v5, 16, v5
	v_and_b32_sdwa v8, v21, v26 dst_sel:DWORD dst_unused:UNUSED_PAD src0_sel:DWORD src1_sel:WORD_1
	v_lshl_or_b32 v5, v5, 16, v8
	v_pk_add_f16 v4, v4, v5
	v_and_b32_e32 v5, 0xffff, v27
	v_lshl_or_b32 v5, v6, 16, v5
	v_pk_add_f16 v4, v4, v5
	v_lshrrev_b32_e32 v5, 16, v6
	v_and_b32_sdwa v6, v21, v27 dst_sel:DWORD dst_unused:UNUSED_PAD src0_sel:DWORD src1_sel:WORD_1
	v_lshl_or_b32 v5, v5, 16, v6
	v_pk_add_f16 v4, v4, v5
	;; [unrolled: 7-line block ×3, first 2 shown]
	ds_read_b128 v[4:7], v20 offset:162
	v_and_b32_e32 v9, 0xffff, v19
	v_lshl_or_b32 v9, v24, 16, v9
	v_pk_add_f16 v10, v8, v9
	ds_read_b64 v[8:9], v20 offset:178
	s_waitcnt lgkmcnt(1)
	v_and_b32_e32 v11, 0xffff, v4
	v_lshl_or_b32 v11, v0, 16, v11
	v_lshrrev_b32_e32 v0, 16, v0
	v_and_b32_sdwa v4, v21, v4 dst_sel:DWORD dst_unused:UNUSED_PAD src0_sel:DWORD src1_sel:WORD_1
	v_pk_add_f16 v10, v10, v11
	v_lshl_or_b32 v0, v0, 16, v4
	v_and_b32_e32 v4, 0xffff, v5
	v_pk_add_f16 v0, v10, v0
	v_lshl_or_b32 v4, v1, 16, v4
	v_pk_add_f16 v0, v0, v4
	v_lshrrev_b32_e32 v1, 16, v1
	v_and_b32_sdwa v4, v21, v5 dst_sel:DWORD dst_unused:UNUSED_PAD src0_sel:DWORD src1_sel:WORD_1
	v_lshl_or_b32 v1, v1, 16, v4
	v_pk_add_f16 v0, v0, v1
	v_and_b32_e32 v1, 0xffff, v6
	v_lshl_or_b32 v1, v2, 16, v1
	v_pk_add_f16 v0, v0, v1
	v_lshrrev_b32_e32 v1, 16, v2
	v_and_b32_sdwa v2, v21, v6 dst_sel:DWORD dst_unused:UNUSED_PAD src0_sel:DWORD src1_sel:WORD_1
	v_lshl_or_b32 v1, v1, 16, v2
	v_pk_add_f16 v0, v0, v1
	v_and_b32_e32 v1, 0xffff, v7
	v_lshl_or_b32 v1, v3, 16, v1
	v_pk_add_f16 v0, v0, v1
	v_lshrrev_b32_e32 v1, 16, v3
	v_and_b32_sdwa v2, v21, v7 dst_sel:DWORD dst_unused:UNUSED_PAD src0_sel:DWORD src1_sel:WORD_1
	v_lshl_or_b32 v1, v1, 16, v2
	v_pk_add_f16 v0, v0, v1
	s_waitcnt lgkmcnt(0)
	v_and_b32_e32 v1, 0xffff, v8
	v_lshl_or_b32 v1, v23, 16, v1
	v_pk_add_f16 v0, v0, v1
	v_lshrrev_b32_e32 v1, 16, v23
	v_and_b32_sdwa v2, v21, v8 dst_sel:DWORD dst_unused:UNUSED_PAD src0_sel:DWORD src1_sel:WORD_1
	v_lshl_or_b32 v1, v1, 16, v2
	v_pk_add_f16 v4, v0, v1
	v_and_b32_e32 v5, 0xffff, v9
	ds_read2_b64 v[0:3], v20 offset0:23 offset1:24
	v_lshl_or_b32 v5, v22, 16, v5
	v_pk_add_f16 v10, v4, v5
	ds_read2_b64 v[4:7], v20 offset0:7 offset1:8
	ds_read_b64 v[8:9], v20 offset:200
	ds_read_u16 v13, v20 offset:76
	ds_read_b32 v18, v20 offset:72
	s_waitcnt lgkmcnt(4)
	v_and_b32_e32 v11, 0xffff, v0
	v_and_b32_sdwa v0, v21, v0 dst_sel:DWORD dst_unused:UNUSED_PAD src0_sel:DWORD src1_sel:WORD_1
	s_waitcnt lgkmcnt(3)
	v_lshl_or_b32 v11, v4, 16, v11
	v_lshrrev_b32_e32 v4, 16, v4
	v_pk_add_f16 v10, v10, v11
	v_lshl_or_b32 v0, v4, 16, v0
	v_and_b32_e32 v4, 0xffff, v1
	v_pk_add_f16 v0, v10, v0
	v_lshl_or_b32 v4, v5, 16, v4
	v_pk_add_f16 v0, v0, v4
	v_lshrrev_b32_e32 v4, 16, v5
	v_and_b32_sdwa v1, v21, v1 dst_sel:DWORD dst_unused:UNUSED_PAD src0_sel:DWORD src1_sel:WORD_1
	v_lshl_or_b32 v1, v4, 16, v1
	v_pk_add_f16 v0, v0, v1
	v_and_b32_e32 v1, 0xffff, v2
	v_lshl_or_b32 v1, v6, 16, v1
	v_pk_add_f16 v0, v0, v1
	v_lshrrev_b32_e32 v1, 16, v6
	v_and_b32_sdwa v2, v21, v2 dst_sel:DWORD dst_unused:UNUSED_PAD src0_sel:DWORD src1_sel:WORD_1
	v_lshl_or_b32 v1, v1, 16, v2
	v_pk_add_f16 v0, v0, v1
	v_and_b32_e32 v1, 0xffff, v3
	v_lshl_or_b32 v1, v7, 16, v1
	v_pk_add_f16 v0, v0, v1
	v_lshrrev_b32_e32 v1, 16, v7
	v_and_b32_sdwa v2, v21, v3 dst_sel:DWORD dst_unused:UNUSED_PAD src0_sel:DWORD src1_sel:WORD_1
	v_lshl_or_b32 v1, v1, 16, v2
	v_pk_add_f16 v0, v0, v1
	s_waitcnt lgkmcnt(2)
	v_and_b32_e32 v1, 0xffff, v8
	s_waitcnt lgkmcnt(0)
	v_lshl_or_b32 v1, v18, 16, v1
	v_pk_add_f16 v0, v0, v1
	v_lshrrev_b32_e32 v1, 16, v18
	v_and_b32_sdwa v2, v21, v8 dst_sel:DWORD dst_unused:UNUSED_PAD src0_sel:DWORD src1_sel:WORD_1
	v_lshl_or_b32 v1, v1, 16, v2
	v_pk_add_f16 v4, v0, v1
	v_and_b32_e32 v5, 0xffff, v9
	ds_read_b128 v[0:3], v20 offset:206
	v_lshl_or_b32 v5, v13, 16, v5
	v_pk_add_f16 v13, v4, v5
	ds_read_b128 v[4:7], v20 offset:78
	ds_read_b64 v[8:9], v20 offset:222
	ds_read_u16 v19, v20 offset:98
	ds_read2_b32 v[10:11], v20 offset0:25 offset1:26
	ds_read_b32 v22, v20 offset:94
	s_waitcnt lgkmcnt(5)
	v_and_b32_e32 v18, 0xffff, v0
	v_and_b32_sdwa v0, v21, v0 dst_sel:DWORD dst_unused:UNUSED_PAD src0_sel:DWORD src1_sel:WORD_1
	s_waitcnt lgkmcnt(4)
	v_lshl_or_b32 v18, v4, 16, v18
	v_lshrrev_b32_e32 v4, 16, v4
	v_pk_add_f16 v13, v13, v18
	v_lshl_or_b32 v0, v4, 16, v0
	v_and_b32_e32 v4, 0xffff, v1
	v_pk_add_f16 v0, v13, v0
	v_lshl_or_b32 v4, v5, 16, v4
	v_pk_add_f16 v0, v0, v4
	v_lshrrev_b32_e32 v4, 16, v5
	v_and_b32_sdwa v1, v21, v1 dst_sel:DWORD dst_unused:UNUSED_PAD src0_sel:DWORD src1_sel:WORD_1
	v_lshl_or_b32 v1, v4, 16, v1
	v_pk_add_f16 v0, v0, v1
	v_and_b32_e32 v1, 0xffff, v2
	v_lshl_or_b32 v1, v6, 16, v1
	v_pk_add_f16 v0, v0, v1
	v_lshrrev_b32_e32 v1, 16, v6
	v_and_b32_sdwa v2, v21, v2 dst_sel:DWORD dst_unused:UNUSED_PAD src0_sel:DWORD src1_sel:WORD_1
	v_lshl_or_b32 v1, v1, 16, v2
	v_pk_add_f16 v0, v0, v1
	v_and_b32_e32 v1, 0xffff, v3
	v_lshl_or_b32 v1, v7, 16, v1
	v_pk_add_f16 v0, v0, v1
	v_lshrrev_b32_e32 v1, 16, v7
	v_and_b32_sdwa v2, v21, v3 dst_sel:DWORD dst_unused:UNUSED_PAD src0_sel:DWORD src1_sel:WORD_1
	v_lshl_or_b32 v1, v1, 16, v2
	v_pk_add_f16 v0, v0, v1
	s_waitcnt lgkmcnt(3)
	v_and_b32_e32 v1, 0xffff, v8
	s_waitcnt lgkmcnt(0)
	v_lshl_or_b32 v1, v22, 16, v1
	v_pk_add_f16 v0, v0, v1
	v_lshrrev_b32_e32 v1, 16, v22
	v_and_b32_sdwa v2, v21, v8 dst_sel:DWORD dst_unused:UNUSED_PAD src0_sel:DWORD src1_sel:WORD_1
	v_lshl_or_b32 v1, v1, 16, v2
	v_pk_add_f16 v2, v0, v1
	v_and_b32_e32 v0, 0xffff, v9
	v_lshl_or_b32 v3, v19, 16, v0
	ds_read2_b32 v[0:1], v20 offset0:57 offset1:58
	v_pk_add_f16 v6, v2, v3
	ds_read2_b32 v[2:3], v20 offset0:59 offset1:60
	ds_read2_b32 v[4:5], v20 offset0:61 offset1:62
	ds_read_b32 v7, v20 offset:252
	s_load_dword s0, s[0:1], 0x28
	s_waitcnt lgkmcnt(0)
	v_and_b32_e32 v8, 0xffff, v0
	v_lshl_or_b32 v8, v10, 16, v8
	v_pk_add_f16 v6, v6, v8
	v_lshrrev_b32_e32 v8, 16, v10
	v_and_b32_sdwa v0, v21, v0 dst_sel:DWORD dst_unused:UNUSED_PAD src0_sel:DWORD src1_sel:WORD_1
	v_lshl_or_b32 v0, v8, 16, v0
	v_pk_add_f16 v0, v6, v0
	v_and_b32_e32 v6, 0xffff, v1
	v_lshl_or_b32 v6, v11, 16, v6
	v_pk_add_f16 v0, v0, v6
	v_lshrrev_b32_e32 v6, 16, v11
	v_and_b32_sdwa v1, v21, v1 dst_sel:DWORD dst_unused:UNUSED_PAD src0_sel:DWORD src1_sel:WORD_1
	v_lshl_or_b32 v1, v6, 16, v1
	v_pk_add_f16 v0, v0, v1
	;; [unrolled: 7-line block ×7, first 2 shown]
	s_bitcmp1_b32 s0, 0
	v_lshrrev_b32_e32 v1, 16, v0
	v_cvt_f32_f16_e32 v2, v1
	v_cvt_f32_f16_e32 v3, v0
	global_store_short v20, v1, s[6:7]
	s_cselect_b64 vcc, -1, 0
	v_rcp_f32_e32 v2, v2
	s_nop 0
	v_mul_f32_e32 v3, v3, v2
	v_fma_mix_f32 v4, -v0, v3, v0 op_sel:[1,0,0] op_sel_hi:[1,0,1]
	s_nop 0
	v_fmac_f32_e32 v3, v4, v2
	v_fma_mix_f32 v4, -v0, v3, v0 op_sel:[1,0,0] op_sel_hi:[1,0,1]
	s_nop 0
	v_mul_f32_e32 v2, v4, v2
	v_and_b32_e32 v2, 0xff800000, v2
	v_add_f32_e32 v2, v2, v3
	v_cvt_f16_f32_e32 v2, v2
	v_div_fixup_f16 v1, v2, v1, v0
	v_cndmask_b32_e32 v0, v0, v1, vcc
	global_store_short v20, v0, s[4:5]
.LBB5_11:
	s_endpgm
	.section	.rodata,"a",@progbits
	.p2align	6, 0x0
	.amdhsa_kernel _Z32nll_loss_forward_reduce2d_kernelI6__halfS0_iLi64EEvPT_S2_PKS1_PKT1_S4_blll
		.amdhsa_group_segment_fixed_size 256
		.amdhsa_private_segment_fixed_size 0
		.amdhsa_kernarg_size 72
		.amdhsa_user_sgpr_count 2
		.amdhsa_user_sgpr_dispatch_ptr 0
		.amdhsa_user_sgpr_queue_ptr 0
		.amdhsa_user_sgpr_kernarg_segment_ptr 1
		.amdhsa_user_sgpr_dispatch_id 0
		.amdhsa_user_sgpr_kernarg_preload_length 0
		.amdhsa_user_sgpr_kernarg_preload_offset 0
		.amdhsa_user_sgpr_private_segment_size 0
		.amdhsa_uses_dynamic_stack 0
		.amdhsa_enable_private_segment 0
		.amdhsa_system_sgpr_workgroup_id_x 1
		.amdhsa_system_sgpr_workgroup_id_y 0
		.amdhsa_system_sgpr_workgroup_id_z 0
		.amdhsa_system_sgpr_workgroup_info 0
		.amdhsa_system_vgpr_workitem_id 0
		.amdhsa_next_free_vgpr 28
		.amdhsa_next_free_sgpr 26
		.amdhsa_accum_offset 28
		.amdhsa_reserve_vcc 1
		.amdhsa_float_round_mode_32 0
		.amdhsa_float_round_mode_16_64 0
		.amdhsa_float_denorm_mode_32 3
		.amdhsa_float_denorm_mode_16_64 3
		.amdhsa_dx10_clamp 1
		.amdhsa_ieee_mode 1
		.amdhsa_fp16_overflow 0
		.amdhsa_tg_split 0
		.amdhsa_exception_fp_ieee_invalid_op 0
		.amdhsa_exception_fp_denorm_src 0
		.amdhsa_exception_fp_ieee_div_zero 0
		.amdhsa_exception_fp_ieee_overflow 0
		.amdhsa_exception_fp_ieee_underflow 0
		.amdhsa_exception_fp_ieee_inexact 0
		.amdhsa_exception_int_div_zero 0
	.end_amdhsa_kernel
	.section	.text._Z32nll_loss_forward_reduce2d_kernelI6__halfS0_iLi64EEvPT_S2_PKS1_PKT1_S4_blll,"axG",@progbits,_Z32nll_loss_forward_reduce2d_kernelI6__halfS0_iLi64EEvPT_S2_PKS1_PKT1_S4_blll,comdat
.Lfunc_end5:
	.size	_Z32nll_loss_forward_reduce2d_kernelI6__halfS0_iLi64EEvPT_S2_PKS1_PKT1_S4_blll, .Lfunc_end5-_Z32nll_loss_forward_reduce2d_kernelI6__halfS0_iLi64EEvPT_S2_PKS1_PKT1_S4_blll
                                        ; -- End function
	.set _Z32nll_loss_forward_reduce2d_kernelI6__halfS0_iLi64EEvPT_S2_PKS1_PKT1_S4_blll.num_vgpr, 28
	.set _Z32nll_loss_forward_reduce2d_kernelI6__halfS0_iLi64EEvPT_S2_PKS1_PKT1_S4_blll.num_agpr, 0
	.set _Z32nll_loss_forward_reduce2d_kernelI6__halfS0_iLi64EEvPT_S2_PKS1_PKT1_S4_blll.numbered_sgpr, 26
	.set _Z32nll_loss_forward_reduce2d_kernelI6__halfS0_iLi64EEvPT_S2_PKS1_PKT1_S4_blll.num_named_barrier, 0
	.set _Z32nll_loss_forward_reduce2d_kernelI6__halfS0_iLi64EEvPT_S2_PKS1_PKT1_S4_blll.private_seg_size, 0
	.set _Z32nll_loss_forward_reduce2d_kernelI6__halfS0_iLi64EEvPT_S2_PKS1_PKT1_S4_blll.uses_vcc, 1
	.set _Z32nll_loss_forward_reduce2d_kernelI6__halfS0_iLi64EEvPT_S2_PKS1_PKT1_S4_blll.uses_flat_scratch, 0
	.set _Z32nll_loss_forward_reduce2d_kernelI6__halfS0_iLi64EEvPT_S2_PKS1_PKT1_S4_blll.has_dyn_sized_stack, 0
	.set _Z32nll_loss_forward_reduce2d_kernelI6__halfS0_iLi64EEvPT_S2_PKS1_PKT1_S4_blll.has_recursion, 0
	.set _Z32nll_loss_forward_reduce2d_kernelI6__halfS0_iLi64EEvPT_S2_PKS1_PKT1_S4_blll.has_indirect_call, 0
	.section	.AMDGPU.csdata,"",@progbits
; Kernel info:
; codeLenInByte = 2468
; TotalNumSgprs: 32
; NumVgprs: 28
; NumAgprs: 0
; TotalNumVgprs: 28
; ScratchSize: 0
; MemoryBound: 0
; FloatMode: 240
; IeeeMode: 1
; LDSByteSize: 256 bytes/workgroup (compile time only)
; SGPRBlocks: 3
; VGPRBlocks: 3
; NumSGPRsForWavesPerEU: 32
; NumVGPRsForWavesPerEU: 28
; AccumOffset: 28
; Occupancy: 8
; WaveLimiterHint : 1
; COMPUTE_PGM_RSRC2:SCRATCH_EN: 0
; COMPUTE_PGM_RSRC2:USER_SGPR: 2
; COMPUTE_PGM_RSRC2:TRAP_HANDLER: 0
; COMPUTE_PGM_RSRC2:TGID_X_EN: 1
; COMPUTE_PGM_RSRC2:TGID_Y_EN: 0
; COMPUTE_PGM_RSRC2:TGID_Z_EN: 0
; COMPUTE_PGM_RSRC2:TIDIG_COMP_CNT: 0
; COMPUTE_PGM_RSRC3_GFX90A:ACCUM_OFFSET: 6
; COMPUTE_PGM_RSRC3_GFX90A:TG_SPLIT: 0
	.section	.text._Z32nll_loss_forward_reduce2d_kernelI6__halfS0_iLi128EEvPT_S2_PKS1_PKT1_S4_blll,"axG",@progbits,_Z32nll_loss_forward_reduce2d_kernelI6__halfS0_iLi128EEvPT_S2_PKS1_PKT1_S4_blll,comdat
	.protected	_Z32nll_loss_forward_reduce2d_kernelI6__halfS0_iLi128EEvPT_S2_PKS1_PKT1_S4_blll ; -- Begin function _Z32nll_loss_forward_reduce2d_kernelI6__halfS0_iLi128EEvPT_S2_PKS1_PKT1_S4_blll
	.globl	_Z32nll_loss_forward_reduce2d_kernelI6__halfS0_iLi128EEvPT_S2_PKS1_PKT1_S4_blll
	.p2align	8
	.type	_Z32nll_loss_forward_reduce2d_kernelI6__halfS0_iLi128EEvPT_S2_PKS1_PKT1_S4_blll,@function
_Z32nll_loss_forward_reduce2d_kernelI6__halfS0_iLi128EEvPT_S2_PKS1_PKT1_S4_blll: ; @_Z32nll_loss_forward_reduce2d_kernelI6__halfS0_iLi128EEvPT_S2_PKS1_PKT1_S4_blll
; %bb.0:
	s_load_dwordx4 s[4:7], s[0:1], 0x0
	s_load_dwordx4 s[8:11], s[0:1], 0x30
	v_mov_b32_e32 v1, 0
	v_lshlrev_b32_e32 v10, 1, v0
	ds_write_b16 v10, v1 offset:256
	ds_write_b16 v10, v1
	s_waitcnt lgkmcnt(0)
	v_cmp_gt_i64_e32 vcc, s[8:9], v[0:1]
	s_and_saveexec_b64 s[12:13], vcc
	s_cbranch_execz .LBB6_8
; %bb.1:
	s_load_dwordx2 s[14:15], s[0:1], 0x20
	s_load_dwordx4 s[20:23], s[0:1], 0x10
	s_load_dwordx2 s[16:17], s[0:1], 0x40
	v_mad_u64_u32 v[2:3], s[24:25], s10, v0, 0
	s_waitcnt lgkmcnt(0)
	s_cmp_lg_u64 s[14:15], 0
	v_mov_b32_e32 v4, v3
	s_cselect_b64 s[2:3], -1, 0
	v_mad_u64_u32 v[4:5], s[24:25], s11, v0, v[4:5]
	v_mov_b32_e32 v3, v4
	v_lshlrev_b32_e32 v4, 2, v0
	v_mov_b32_e32 v5, v1
	v_cndmask_b32_e64 v6, 0, 1, s[2:3]
	v_add_u32_e32 v11, 0x100, v10
	s_mov_b64 s[18:19], 0
	v_lshl_add_u64 v[2:3], v[2:3], 1, s[20:21]
	s_lshl_b64 s[10:11], s[10:11], 8
	v_lshl_add_u64 v[4:5], s[22:23], 0, v[4:5]
	v_cmp_ne_u32_e64 s[2:3], 1, v6
	s_mov_b64 s[20:21], 0x80
	s_mov_b64 s[22:23], 0x200
	v_mov_b32_e32 v12, v1
	v_mov_b64_e32 v[6:7], v[0:1]
	s_branch .LBB6_5
.LBB6_2:                                ;   in Loop: Header=BB6_5 Depth=1
	v_lshl_add_u64 v[14:15], v[8:9], 1, s[14:15]
	global_load_ushort v13, v[14:15], off
.LBB6_3:                                ;   in Loop: Header=BB6_5 Depth=1
	v_lshl_add_u64 v[8:9], v[8:9], 1, v[2:3]
	global_load_ushort v8, v[8:9], off
	s_waitcnt vmcnt(1)
	v_add_f16_e32 v1, v13, v1
	s_waitcnt vmcnt(0)
	v_fma_f16 v12, -v13, v8, v12
	ds_write_b16 v11, v12
	ds_write_b16 v10, v1
.LBB6_4:                                ;   in Loop: Header=BB6_5 Depth=1
	s_or_b64 exec, exec, s[24:25]
	v_lshl_add_u64 v[6:7], v[6:7], 0, s[20:21]
	v_cmp_le_i64_e32 vcc, s[8:9], v[6:7]
	v_lshl_add_u64 v[2:3], v[2:3], 0, s[10:11]
	s_or_b64 s[18:19], vcc, s[18:19]
	v_lshl_add_u64 v[4:5], v[4:5], 0, s[22:23]
	s_andn2_b64 exec, exec, s[18:19]
	s_cbranch_execz .LBB6_8
.LBB6_5:                                ; =>This Inner Loop Header: Depth=1
	global_load_dword v8, v[4:5], off
	s_waitcnt vmcnt(0)
	v_ashrrev_i32_e32 v9, 31, v8
	v_cmp_ne_u64_e32 vcc, s[16:17], v[8:9]
	s_and_saveexec_b64 s[24:25], vcc
	s_cbranch_execz .LBB6_4
; %bb.6:                                ;   in Loop: Header=BB6_5 Depth=1
	s_and_b64 vcc, exec, s[2:3]
	s_cbranch_vccz .LBB6_2
; %bb.7:                                ;   in Loop: Header=BB6_5 Depth=1
	v_mov_b32_e32 v13, 0x3c00
	s_branch .LBB6_3
.LBB6_8:
	s_or_b64 exec, exec, s[12:13]
; %bb.9:
	s_mov_b32 s2, 0
	v_cmp_eq_u32_e32 vcc, 0, v0
	s_waitcnt lgkmcnt(0)
	s_barrier
	s_and_saveexec_b64 s[8:9], vcc
	s_cbranch_execz .LBB6_13
; %bb.10:
	v_mov_b32_e32 v1, 0
	v_mov_b32_e32 v0, 0
.LBB6_11:                               ; =>This Inner Loop Header: Depth=1
	v_mov_b32_e32 v14, s2
	ds_read_b128 v[2:5], v14 offset:256
	ds_read_b128 v[6:9], v14
	ds_read_b128 v[10:13], v14 offset:16
	ds_read_b128 v[14:17], v14 offset:272
	s_add_i32 s2, s2, 32
	s_waitcnt lgkmcnt(3)
	v_add_f16_e32 v0, v0, v2
	s_waitcnt lgkmcnt(2)
	v_add_f16_e32 v1, v1, v6
	v_add_f16_sdwa v0, v0, v2 dst_sel:DWORD dst_unused:UNUSED_PAD src0_sel:DWORD src1_sel:WORD_1
	v_add_f16_sdwa v1, v1, v6 dst_sel:DWORD dst_unused:UNUSED_PAD src0_sel:DWORD src1_sel:WORD_1
	v_add_f16_e32 v0, v0, v3
	v_add_f16_e32 v1, v1, v7
	v_add_f16_sdwa v0, v0, v3 dst_sel:DWORD dst_unused:UNUSED_PAD src0_sel:DWORD src1_sel:WORD_1
	v_add_f16_sdwa v1, v1, v7 dst_sel:DWORD dst_unused:UNUSED_PAD src0_sel:DWORD src1_sel:WORD_1
	v_add_f16_e32 v0, v0, v4
	;; [unrolled: 4-line block ×3, first 2 shown]
	v_add_f16_e32 v1, v1, v9
	v_add_f16_sdwa v0, v0, v5 dst_sel:DWORD dst_unused:UNUSED_PAD src0_sel:DWORD src1_sel:WORD_1
	v_add_f16_sdwa v1, v1, v9 dst_sel:DWORD dst_unused:UNUSED_PAD src0_sel:DWORD src1_sel:WORD_1
	s_waitcnt lgkmcnt(0)
	v_add_f16_e32 v0, v0, v14
	v_add_f16_e32 v1, v1, v10
	v_add_f16_sdwa v0, v0, v14 dst_sel:DWORD dst_unused:UNUSED_PAD src0_sel:DWORD src1_sel:WORD_1
	v_add_f16_sdwa v1, v1, v10 dst_sel:DWORD dst_unused:UNUSED_PAD src0_sel:DWORD src1_sel:WORD_1
	v_add_f16_e32 v0, v0, v15
	v_add_f16_e32 v1, v1, v11
	v_add_f16_sdwa v0, v0, v15 dst_sel:DWORD dst_unused:UNUSED_PAD src0_sel:DWORD src1_sel:WORD_1
	v_add_f16_sdwa v1, v1, v11 dst_sel:DWORD dst_unused:UNUSED_PAD src0_sel:DWORD src1_sel:WORD_1
	;; [unrolled: 4-line block ×3, first 2 shown]
	v_add_f16_e32 v0, v0, v17
	v_add_f16_e32 v1, v1, v13
	s_cmpk_eq_i32 s2, 0x100
	v_add_f16_sdwa v0, v0, v17 dst_sel:DWORD dst_unused:UNUSED_PAD src0_sel:DWORD src1_sel:WORD_1
	v_add_f16_sdwa v1, v1, v13 dst_sel:DWORD dst_unused:UNUSED_PAD src0_sel:DWORD src1_sel:WORD_1
	s_cbranch_scc0 .LBB6_11
; %bb.12:
	v_cvt_f32_f16_e32 v2, v1
	v_cvt_f32_f16_e32 v3, v0
	s_load_dword s0, s[0:1], 0x28
	v_rcp_f32_e32 v2, v2
	s_waitcnt lgkmcnt(0)
	s_bitcmp1_b32 s0, 0
	v_mul_f32_e32 v3, v3, v2
	v_fma_mix_f32 v4, -v1, v3, v0 op_sel_hi:[1,0,1]
	s_cselect_b64 vcc, -1, 0
	v_fmac_f32_e32 v3, v4, v2
	v_fma_mix_f32 v4, -v1, v3, v0 op_sel_hi:[1,0,1]
	s_nop 0
	v_mul_f32_e32 v2, v4, v2
	v_and_b32_e32 v2, 0xff800000, v2
	v_add_f32_e32 v2, v2, v3
	v_cvt_f16_f32_e32 v2, v2
	v_mov_b32_e32 v3, 0
	global_store_short v3, v1, s[6:7]
	v_div_fixup_f16 v1, v2, v1, v0
	v_cndmask_b32_e32 v0, v0, v1, vcc
	global_store_short v3, v0, s[4:5]
.LBB6_13:
	s_endpgm
	.section	.rodata,"a",@progbits
	.p2align	6, 0x0
	.amdhsa_kernel _Z32nll_loss_forward_reduce2d_kernelI6__halfS0_iLi128EEvPT_S2_PKS1_PKT1_S4_blll
		.amdhsa_group_segment_fixed_size 512
		.amdhsa_private_segment_fixed_size 0
		.amdhsa_kernarg_size 72
		.amdhsa_user_sgpr_count 2
		.amdhsa_user_sgpr_dispatch_ptr 0
		.amdhsa_user_sgpr_queue_ptr 0
		.amdhsa_user_sgpr_kernarg_segment_ptr 1
		.amdhsa_user_sgpr_dispatch_id 0
		.amdhsa_user_sgpr_kernarg_preload_length 0
		.amdhsa_user_sgpr_kernarg_preload_offset 0
		.amdhsa_user_sgpr_private_segment_size 0
		.amdhsa_uses_dynamic_stack 0
		.amdhsa_enable_private_segment 0
		.amdhsa_system_sgpr_workgroup_id_x 1
		.amdhsa_system_sgpr_workgroup_id_y 0
		.amdhsa_system_sgpr_workgroup_id_z 0
		.amdhsa_system_sgpr_workgroup_info 0
		.amdhsa_system_vgpr_workitem_id 0
		.amdhsa_next_free_vgpr 18
		.amdhsa_next_free_sgpr 26
		.amdhsa_accum_offset 20
		.amdhsa_reserve_vcc 1
		.amdhsa_float_round_mode_32 0
		.amdhsa_float_round_mode_16_64 0
		.amdhsa_float_denorm_mode_32 3
		.amdhsa_float_denorm_mode_16_64 3
		.amdhsa_dx10_clamp 1
		.amdhsa_ieee_mode 1
		.amdhsa_fp16_overflow 0
		.amdhsa_tg_split 0
		.amdhsa_exception_fp_ieee_invalid_op 0
		.amdhsa_exception_fp_denorm_src 0
		.amdhsa_exception_fp_ieee_div_zero 0
		.amdhsa_exception_fp_ieee_overflow 0
		.amdhsa_exception_fp_ieee_underflow 0
		.amdhsa_exception_fp_ieee_inexact 0
		.amdhsa_exception_int_div_zero 0
	.end_amdhsa_kernel
	.section	.text._Z32nll_loss_forward_reduce2d_kernelI6__halfS0_iLi128EEvPT_S2_PKS1_PKT1_S4_blll,"axG",@progbits,_Z32nll_loss_forward_reduce2d_kernelI6__halfS0_iLi128EEvPT_S2_PKS1_PKT1_S4_blll,comdat
.Lfunc_end6:
	.size	_Z32nll_loss_forward_reduce2d_kernelI6__halfS0_iLi128EEvPT_S2_PKS1_PKT1_S4_blll, .Lfunc_end6-_Z32nll_loss_forward_reduce2d_kernelI6__halfS0_iLi128EEvPT_S2_PKS1_PKT1_S4_blll
                                        ; -- End function
	.set _Z32nll_loss_forward_reduce2d_kernelI6__halfS0_iLi128EEvPT_S2_PKS1_PKT1_S4_blll.num_vgpr, 18
	.set _Z32nll_loss_forward_reduce2d_kernelI6__halfS0_iLi128EEvPT_S2_PKS1_PKT1_S4_blll.num_agpr, 0
	.set _Z32nll_loss_forward_reduce2d_kernelI6__halfS0_iLi128EEvPT_S2_PKS1_PKT1_S4_blll.numbered_sgpr, 26
	.set _Z32nll_loss_forward_reduce2d_kernelI6__halfS0_iLi128EEvPT_S2_PKS1_PKT1_S4_blll.num_named_barrier, 0
	.set _Z32nll_loss_forward_reduce2d_kernelI6__halfS0_iLi128EEvPT_S2_PKS1_PKT1_S4_blll.private_seg_size, 0
	.set _Z32nll_loss_forward_reduce2d_kernelI6__halfS0_iLi128EEvPT_S2_PKS1_PKT1_S4_blll.uses_vcc, 1
	.set _Z32nll_loss_forward_reduce2d_kernelI6__halfS0_iLi128EEvPT_S2_PKS1_PKT1_S4_blll.uses_flat_scratch, 0
	.set _Z32nll_loss_forward_reduce2d_kernelI6__halfS0_iLi128EEvPT_S2_PKS1_PKT1_S4_blll.has_dyn_sized_stack, 0
	.set _Z32nll_loss_forward_reduce2d_kernelI6__halfS0_iLi128EEvPT_S2_PKS1_PKT1_S4_blll.has_recursion, 0
	.set _Z32nll_loss_forward_reduce2d_kernelI6__halfS0_iLi128EEvPT_S2_PKS1_PKT1_S4_blll.has_indirect_call, 0
	.section	.AMDGPU.csdata,"",@progbits
; Kernel info:
; codeLenInByte = 764
; TotalNumSgprs: 32
; NumVgprs: 18
; NumAgprs: 0
; TotalNumVgprs: 18
; ScratchSize: 0
; MemoryBound: 0
; FloatMode: 240
; IeeeMode: 1
; LDSByteSize: 512 bytes/workgroup (compile time only)
; SGPRBlocks: 3
; VGPRBlocks: 2
; NumSGPRsForWavesPerEU: 32
; NumVGPRsForWavesPerEU: 18
; AccumOffset: 20
; Occupancy: 8
; WaveLimiterHint : 1
; COMPUTE_PGM_RSRC2:SCRATCH_EN: 0
; COMPUTE_PGM_RSRC2:USER_SGPR: 2
; COMPUTE_PGM_RSRC2:TRAP_HANDLER: 0
; COMPUTE_PGM_RSRC2:TGID_X_EN: 1
; COMPUTE_PGM_RSRC2:TGID_Y_EN: 0
; COMPUTE_PGM_RSRC2:TGID_Z_EN: 0
; COMPUTE_PGM_RSRC2:TIDIG_COMP_CNT: 0
; COMPUTE_PGM_RSRC3_GFX90A:ACCUM_OFFSET: 4
; COMPUTE_PGM_RSRC3_GFX90A:TG_SPLIT: 0
	.section	.text._Z32nll_loss_forward_reduce2d_kernelI6__halfS0_iLi256EEvPT_S2_PKS1_PKT1_S4_blll,"axG",@progbits,_Z32nll_loss_forward_reduce2d_kernelI6__halfS0_iLi256EEvPT_S2_PKS1_PKT1_S4_blll,comdat
	.protected	_Z32nll_loss_forward_reduce2d_kernelI6__halfS0_iLi256EEvPT_S2_PKS1_PKT1_S4_blll ; -- Begin function _Z32nll_loss_forward_reduce2d_kernelI6__halfS0_iLi256EEvPT_S2_PKS1_PKT1_S4_blll
	.globl	_Z32nll_loss_forward_reduce2d_kernelI6__halfS0_iLi256EEvPT_S2_PKS1_PKT1_S4_blll
	.p2align	8
	.type	_Z32nll_loss_forward_reduce2d_kernelI6__halfS0_iLi256EEvPT_S2_PKS1_PKT1_S4_blll,@function
_Z32nll_loss_forward_reduce2d_kernelI6__halfS0_iLi256EEvPT_S2_PKS1_PKT1_S4_blll: ; @_Z32nll_loss_forward_reduce2d_kernelI6__halfS0_iLi256EEvPT_S2_PKS1_PKT1_S4_blll
; %bb.0:
	s_load_dwordx4 s[4:7], s[0:1], 0x0
	s_load_dwordx4 s[8:11], s[0:1], 0x30
	v_mov_b32_e32 v1, 0
	v_lshlrev_b32_e32 v10, 1, v0
	ds_write_b16 v10, v1 offset:512
	ds_write_b16 v10, v1
	s_waitcnt lgkmcnt(0)
	v_cmp_gt_i64_e32 vcc, s[8:9], v[0:1]
	s_and_saveexec_b64 s[12:13], vcc
	s_cbranch_execz .LBB7_8
; %bb.1:
	s_load_dwordx2 s[14:15], s[0:1], 0x20
	s_load_dwordx4 s[20:23], s[0:1], 0x10
	s_load_dwordx2 s[16:17], s[0:1], 0x40
	v_mad_u64_u32 v[2:3], s[24:25], s10, v0, 0
	s_waitcnt lgkmcnt(0)
	s_cmp_lg_u64 s[14:15], 0
	v_mov_b32_e32 v4, v3
	s_cselect_b64 s[2:3], -1, 0
	v_mad_u64_u32 v[4:5], s[24:25], s11, v0, v[4:5]
	v_mov_b32_e32 v3, v4
	v_lshlrev_b32_e32 v4, 2, v0
	v_mov_b32_e32 v5, v1
	v_cndmask_b32_e64 v6, 0, 1, s[2:3]
	v_add_u32_e32 v11, 0x200, v10
	s_mov_b64 s[18:19], 0
	v_lshl_add_u64 v[2:3], v[2:3], 1, s[20:21]
	s_lshl_b64 s[10:11], s[10:11], 9
	v_lshl_add_u64 v[4:5], s[22:23], 0, v[4:5]
	v_cmp_ne_u32_e64 s[2:3], 1, v6
	s_mov_b64 s[20:21], 0x100
	s_mov_b64 s[22:23], 0x400
	v_mov_b32_e32 v12, v1
	v_mov_b64_e32 v[6:7], v[0:1]
	s_branch .LBB7_5
.LBB7_2:                                ;   in Loop: Header=BB7_5 Depth=1
	v_lshl_add_u64 v[14:15], v[8:9], 1, s[14:15]
	global_load_ushort v13, v[14:15], off
.LBB7_3:                                ;   in Loop: Header=BB7_5 Depth=1
	v_lshl_add_u64 v[8:9], v[8:9], 1, v[2:3]
	global_load_ushort v8, v[8:9], off
	s_waitcnt vmcnt(1)
	v_add_f16_e32 v1, v13, v1
	s_waitcnt vmcnt(0)
	v_fma_f16 v12, -v13, v8, v12
	ds_write_b16 v11, v12
	ds_write_b16 v10, v1
.LBB7_4:                                ;   in Loop: Header=BB7_5 Depth=1
	s_or_b64 exec, exec, s[24:25]
	v_lshl_add_u64 v[6:7], v[6:7], 0, s[20:21]
	v_cmp_le_i64_e32 vcc, s[8:9], v[6:7]
	v_lshl_add_u64 v[2:3], v[2:3], 0, s[10:11]
	s_or_b64 s[18:19], vcc, s[18:19]
	v_lshl_add_u64 v[4:5], v[4:5], 0, s[22:23]
	s_andn2_b64 exec, exec, s[18:19]
	s_cbranch_execz .LBB7_8
.LBB7_5:                                ; =>This Inner Loop Header: Depth=1
	global_load_dword v8, v[4:5], off
	s_waitcnt vmcnt(0)
	v_ashrrev_i32_e32 v9, 31, v8
	v_cmp_ne_u64_e32 vcc, s[16:17], v[8:9]
	s_and_saveexec_b64 s[24:25], vcc
	s_cbranch_execz .LBB7_4
; %bb.6:                                ;   in Loop: Header=BB7_5 Depth=1
	s_and_b64 vcc, exec, s[2:3]
	s_cbranch_vccz .LBB7_2
; %bb.7:                                ;   in Loop: Header=BB7_5 Depth=1
	v_mov_b32_e32 v13, 0x3c00
	s_branch .LBB7_3
.LBB7_8:
	s_or_b64 exec, exec, s[12:13]
; %bb.9:
	s_mov_b32 s2, 0
	v_cmp_eq_u32_e32 vcc, 0, v0
	s_waitcnt lgkmcnt(0)
	s_barrier
	s_and_saveexec_b64 s[8:9], vcc
	s_cbranch_execz .LBB7_13
; %bb.10:
	v_mov_b32_e32 v1, 0
	v_mov_b32_e32 v0, 0
.LBB7_11:                               ; =>This Inner Loop Header: Depth=1
	v_mov_b32_e32 v14, s2
	ds_read_b128 v[2:5], v14 offset:512
	ds_read_b128 v[6:9], v14
	ds_read_b128 v[10:13], v14 offset:16
	ds_read_b128 v[14:17], v14 offset:528
	s_add_i32 s2, s2, 32
	s_waitcnt lgkmcnt(3)
	v_add_f16_e32 v0, v0, v2
	s_waitcnt lgkmcnt(2)
	v_add_f16_e32 v1, v1, v6
	v_add_f16_sdwa v0, v0, v2 dst_sel:DWORD dst_unused:UNUSED_PAD src0_sel:DWORD src1_sel:WORD_1
	v_add_f16_sdwa v1, v1, v6 dst_sel:DWORD dst_unused:UNUSED_PAD src0_sel:DWORD src1_sel:WORD_1
	v_add_f16_e32 v0, v0, v3
	v_add_f16_e32 v1, v1, v7
	v_add_f16_sdwa v0, v0, v3 dst_sel:DWORD dst_unused:UNUSED_PAD src0_sel:DWORD src1_sel:WORD_1
	v_add_f16_sdwa v1, v1, v7 dst_sel:DWORD dst_unused:UNUSED_PAD src0_sel:DWORD src1_sel:WORD_1
	v_add_f16_e32 v0, v0, v4
	;; [unrolled: 4-line block ×3, first 2 shown]
	v_add_f16_e32 v1, v1, v9
	v_add_f16_sdwa v0, v0, v5 dst_sel:DWORD dst_unused:UNUSED_PAD src0_sel:DWORD src1_sel:WORD_1
	v_add_f16_sdwa v1, v1, v9 dst_sel:DWORD dst_unused:UNUSED_PAD src0_sel:DWORD src1_sel:WORD_1
	s_waitcnt lgkmcnt(0)
	v_add_f16_e32 v0, v0, v14
	v_add_f16_e32 v1, v1, v10
	v_add_f16_sdwa v0, v0, v14 dst_sel:DWORD dst_unused:UNUSED_PAD src0_sel:DWORD src1_sel:WORD_1
	v_add_f16_sdwa v1, v1, v10 dst_sel:DWORD dst_unused:UNUSED_PAD src0_sel:DWORD src1_sel:WORD_1
	v_add_f16_e32 v0, v0, v15
	v_add_f16_e32 v1, v1, v11
	v_add_f16_sdwa v0, v0, v15 dst_sel:DWORD dst_unused:UNUSED_PAD src0_sel:DWORD src1_sel:WORD_1
	v_add_f16_sdwa v1, v1, v11 dst_sel:DWORD dst_unused:UNUSED_PAD src0_sel:DWORD src1_sel:WORD_1
	;; [unrolled: 4-line block ×3, first 2 shown]
	v_add_f16_e32 v0, v0, v17
	v_add_f16_e32 v1, v1, v13
	s_cmpk_eq_i32 s2, 0x200
	v_add_f16_sdwa v0, v0, v17 dst_sel:DWORD dst_unused:UNUSED_PAD src0_sel:DWORD src1_sel:WORD_1
	v_add_f16_sdwa v1, v1, v13 dst_sel:DWORD dst_unused:UNUSED_PAD src0_sel:DWORD src1_sel:WORD_1
	s_cbranch_scc0 .LBB7_11
; %bb.12:
	v_cvt_f32_f16_e32 v2, v1
	v_cvt_f32_f16_e32 v3, v0
	s_load_dword s0, s[0:1], 0x28
	v_rcp_f32_e32 v2, v2
	s_waitcnt lgkmcnt(0)
	s_bitcmp1_b32 s0, 0
	v_mul_f32_e32 v3, v3, v2
	v_fma_mix_f32 v4, -v1, v3, v0 op_sel_hi:[1,0,1]
	s_cselect_b64 vcc, -1, 0
	v_fmac_f32_e32 v3, v4, v2
	v_fma_mix_f32 v4, -v1, v3, v0 op_sel_hi:[1,0,1]
	s_nop 0
	v_mul_f32_e32 v2, v4, v2
	v_and_b32_e32 v2, 0xff800000, v2
	v_add_f32_e32 v2, v2, v3
	v_cvt_f16_f32_e32 v2, v2
	v_mov_b32_e32 v3, 0
	global_store_short v3, v1, s[6:7]
	v_div_fixup_f16 v1, v2, v1, v0
	v_cndmask_b32_e32 v0, v0, v1, vcc
	global_store_short v3, v0, s[4:5]
.LBB7_13:
	s_endpgm
	.section	.rodata,"a",@progbits
	.p2align	6, 0x0
	.amdhsa_kernel _Z32nll_loss_forward_reduce2d_kernelI6__halfS0_iLi256EEvPT_S2_PKS1_PKT1_S4_blll
		.amdhsa_group_segment_fixed_size 1024
		.amdhsa_private_segment_fixed_size 0
		.amdhsa_kernarg_size 72
		.amdhsa_user_sgpr_count 2
		.amdhsa_user_sgpr_dispatch_ptr 0
		.amdhsa_user_sgpr_queue_ptr 0
		.amdhsa_user_sgpr_kernarg_segment_ptr 1
		.amdhsa_user_sgpr_dispatch_id 0
		.amdhsa_user_sgpr_kernarg_preload_length 0
		.amdhsa_user_sgpr_kernarg_preload_offset 0
		.amdhsa_user_sgpr_private_segment_size 0
		.amdhsa_uses_dynamic_stack 0
		.amdhsa_enable_private_segment 0
		.amdhsa_system_sgpr_workgroup_id_x 1
		.amdhsa_system_sgpr_workgroup_id_y 0
		.amdhsa_system_sgpr_workgroup_id_z 0
		.amdhsa_system_sgpr_workgroup_info 0
		.amdhsa_system_vgpr_workitem_id 0
		.amdhsa_next_free_vgpr 18
		.amdhsa_next_free_sgpr 26
		.amdhsa_accum_offset 20
		.amdhsa_reserve_vcc 1
		.amdhsa_float_round_mode_32 0
		.amdhsa_float_round_mode_16_64 0
		.amdhsa_float_denorm_mode_32 3
		.amdhsa_float_denorm_mode_16_64 3
		.amdhsa_dx10_clamp 1
		.amdhsa_ieee_mode 1
		.amdhsa_fp16_overflow 0
		.amdhsa_tg_split 0
		.amdhsa_exception_fp_ieee_invalid_op 0
		.amdhsa_exception_fp_denorm_src 0
		.amdhsa_exception_fp_ieee_div_zero 0
		.amdhsa_exception_fp_ieee_overflow 0
		.amdhsa_exception_fp_ieee_underflow 0
		.amdhsa_exception_fp_ieee_inexact 0
		.amdhsa_exception_int_div_zero 0
	.end_amdhsa_kernel
	.section	.text._Z32nll_loss_forward_reduce2d_kernelI6__halfS0_iLi256EEvPT_S2_PKS1_PKT1_S4_blll,"axG",@progbits,_Z32nll_loss_forward_reduce2d_kernelI6__halfS0_iLi256EEvPT_S2_PKS1_PKT1_S4_blll,comdat
.Lfunc_end7:
	.size	_Z32nll_loss_forward_reduce2d_kernelI6__halfS0_iLi256EEvPT_S2_PKS1_PKT1_S4_blll, .Lfunc_end7-_Z32nll_loss_forward_reduce2d_kernelI6__halfS0_iLi256EEvPT_S2_PKS1_PKT1_S4_blll
                                        ; -- End function
	.set _Z32nll_loss_forward_reduce2d_kernelI6__halfS0_iLi256EEvPT_S2_PKS1_PKT1_S4_blll.num_vgpr, 18
	.set _Z32nll_loss_forward_reduce2d_kernelI6__halfS0_iLi256EEvPT_S2_PKS1_PKT1_S4_blll.num_agpr, 0
	.set _Z32nll_loss_forward_reduce2d_kernelI6__halfS0_iLi256EEvPT_S2_PKS1_PKT1_S4_blll.numbered_sgpr, 26
	.set _Z32nll_loss_forward_reduce2d_kernelI6__halfS0_iLi256EEvPT_S2_PKS1_PKT1_S4_blll.num_named_barrier, 0
	.set _Z32nll_loss_forward_reduce2d_kernelI6__halfS0_iLi256EEvPT_S2_PKS1_PKT1_S4_blll.private_seg_size, 0
	.set _Z32nll_loss_forward_reduce2d_kernelI6__halfS0_iLi256EEvPT_S2_PKS1_PKT1_S4_blll.uses_vcc, 1
	.set _Z32nll_loss_forward_reduce2d_kernelI6__halfS0_iLi256EEvPT_S2_PKS1_PKT1_S4_blll.uses_flat_scratch, 0
	.set _Z32nll_loss_forward_reduce2d_kernelI6__halfS0_iLi256EEvPT_S2_PKS1_PKT1_S4_blll.has_dyn_sized_stack, 0
	.set _Z32nll_loss_forward_reduce2d_kernelI6__halfS0_iLi256EEvPT_S2_PKS1_PKT1_S4_blll.has_recursion, 0
	.set _Z32nll_loss_forward_reduce2d_kernelI6__halfS0_iLi256EEvPT_S2_PKS1_PKT1_S4_blll.has_indirect_call, 0
	.section	.AMDGPU.csdata,"",@progbits
; Kernel info:
; codeLenInByte = 764
; TotalNumSgprs: 32
; NumVgprs: 18
; NumAgprs: 0
; TotalNumVgprs: 18
; ScratchSize: 0
; MemoryBound: 0
; FloatMode: 240
; IeeeMode: 1
; LDSByteSize: 1024 bytes/workgroup (compile time only)
; SGPRBlocks: 3
; VGPRBlocks: 2
; NumSGPRsForWavesPerEU: 32
; NumVGPRsForWavesPerEU: 18
; AccumOffset: 20
; Occupancy: 8
; WaveLimiterHint : 1
; COMPUTE_PGM_RSRC2:SCRATCH_EN: 0
; COMPUTE_PGM_RSRC2:USER_SGPR: 2
; COMPUTE_PGM_RSRC2:TRAP_HANDLER: 0
; COMPUTE_PGM_RSRC2:TGID_X_EN: 1
; COMPUTE_PGM_RSRC2:TGID_Y_EN: 0
; COMPUTE_PGM_RSRC2:TGID_Z_EN: 0
; COMPUTE_PGM_RSRC2:TIDIG_COMP_CNT: 0
; COMPUTE_PGM_RSRC3_GFX90A:ACCUM_OFFSET: 4
; COMPUTE_PGM_RSRC3_GFX90A:TG_SPLIT: 0
	.section	.text._Z32nll_loss_forward_reduce2d_kernelI6__halfS0_iLi512EEvPT_S2_PKS1_PKT1_S4_blll,"axG",@progbits,_Z32nll_loss_forward_reduce2d_kernelI6__halfS0_iLi512EEvPT_S2_PKS1_PKT1_S4_blll,comdat
	.protected	_Z32nll_loss_forward_reduce2d_kernelI6__halfS0_iLi512EEvPT_S2_PKS1_PKT1_S4_blll ; -- Begin function _Z32nll_loss_forward_reduce2d_kernelI6__halfS0_iLi512EEvPT_S2_PKS1_PKT1_S4_blll
	.globl	_Z32nll_loss_forward_reduce2d_kernelI6__halfS0_iLi512EEvPT_S2_PKS1_PKT1_S4_blll
	.p2align	8
	.type	_Z32nll_loss_forward_reduce2d_kernelI6__halfS0_iLi512EEvPT_S2_PKS1_PKT1_S4_blll,@function
_Z32nll_loss_forward_reduce2d_kernelI6__halfS0_iLi512EEvPT_S2_PKS1_PKT1_S4_blll: ; @_Z32nll_loss_forward_reduce2d_kernelI6__halfS0_iLi512EEvPT_S2_PKS1_PKT1_S4_blll
; %bb.0:
	s_load_dwordx4 s[4:7], s[0:1], 0x0
	s_load_dwordx4 s[8:11], s[0:1], 0x30
	v_mov_b32_e32 v1, 0
	v_lshlrev_b32_e32 v10, 1, v0
	ds_write_b16 v10, v1 offset:1024
	ds_write_b16 v10, v1
	s_waitcnt lgkmcnt(0)
	v_cmp_gt_i64_e32 vcc, s[8:9], v[0:1]
	s_and_saveexec_b64 s[12:13], vcc
	s_cbranch_execz .LBB8_8
; %bb.1:
	s_load_dwordx2 s[14:15], s[0:1], 0x20
	s_load_dwordx4 s[20:23], s[0:1], 0x10
	s_load_dwordx2 s[16:17], s[0:1], 0x40
	v_mad_u64_u32 v[2:3], s[24:25], s10, v0, 0
	s_waitcnt lgkmcnt(0)
	s_cmp_lg_u64 s[14:15], 0
	v_mov_b32_e32 v4, v3
	s_cselect_b64 s[2:3], -1, 0
	v_mad_u64_u32 v[4:5], s[24:25], s11, v0, v[4:5]
	v_mov_b32_e32 v3, v4
	v_lshlrev_b32_e32 v4, 2, v0
	v_mov_b32_e32 v5, v1
	v_cndmask_b32_e64 v6, 0, 1, s[2:3]
	v_add_u32_e32 v11, 0x400, v10
	s_mov_b64 s[18:19], 0
	v_lshl_add_u64 v[2:3], v[2:3], 1, s[20:21]
	s_lshl_b64 s[10:11], s[10:11], 10
	v_lshl_add_u64 v[4:5], s[22:23], 0, v[4:5]
	v_cmp_ne_u32_e64 s[2:3], 1, v6
	s_mov_b64 s[20:21], 0x200
	s_mov_b64 s[22:23], 0x800
	v_mov_b32_e32 v12, v1
	v_mov_b64_e32 v[6:7], v[0:1]
	s_branch .LBB8_5
.LBB8_2:                                ;   in Loop: Header=BB8_5 Depth=1
	v_lshl_add_u64 v[14:15], v[8:9], 1, s[14:15]
	global_load_ushort v13, v[14:15], off
.LBB8_3:                                ;   in Loop: Header=BB8_5 Depth=1
	v_lshl_add_u64 v[8:9], v[8:9], 1, v[2:3]
	global_load_ushort v8, v[8:9], off
	s_waitcnt vmcnt(1)
	v_add_f16_e32 v1, v13, v1
	s_waitcnt vmcnt(0)
	v_fma_f16 v12, -v13, v8, v12
	ds_write_b16 v11, v12
	ds_write_b16 v10, v1
.LBB8_4:                                ;   in Loop: Header=BB8_5 Depth=1
	s_or_b64 exec, exec, s[24:25]
	v_lshl_add_u64 v[6:7], v[6:7], 0, s[20:21]
	v_cmp_le_i64_e32 vcc, s[8:9], v[6:7]
	v_lshl_add_u64 v[2:3], v[2:3], 0, s[10:11]
	s_or_b64 s[18:19], vcc, s[18:19]
	v_lshl_add_u64 v[4:5], v[4:5], 0, s[22:23]
	s_andn2_b64 exec, exec, s[18:19]
	s_cbranch_execz .LBB8_8
.LBB8_5:                                ; =>This Inner Loop Header: Depth=1
	global_load_dword v8, v[4:5], off
	s_waitcnt vmcnt(0)
	v_ashrrev_i32_e32 v9, 31, v8
	v_cmp_ne_u64_e32 vcc, s[16:17], v[8:9]
	s_and_saveexec_b64 s[24:25], vcc
	s_cbranch_execz .LBB8_4
; %bb.6:                                ;   in Loop: Header=BB8_5 Depth=1
	s_and_b64 vcc, exec, s[2:3]
	s_cbranch_vccz .LBB8_2
; %bb.7:                                ;   in Loop: Header=BB8_5 Depth=1
	v_mov_b32_e32 v13, 0x3c00
	s_branch .LBB8_3
.LBB8_8:
	s_or_b64 exec, exec, s[12:13]
; %bb.9:
	s_mov_b32 s2, 0
	v_cmp_eq_u32_e32 vcc, 0, v0
	s_waitcnt lgkmcnt(0)
	s_barrier
	s_and_saveexec_b64 s[8:9], vcc
	s_cbranch_execz .LBB8_13
; %bb.10:
	v_mov_b32_e32 v1, 0
	v_mov_b32_e32 v0, 0
.LBB8_11:                               ; =>This Inner Loop Header: Depth=1
	v_mov_b32_e32 v14, s2
	ds_read_b128 v[2:5], v14 offset:1024
	ds_read_b128 v[6:9], v14
	ds_read_b128 v[10:13], v14 offset:16
	ds_read_b128 v[14:17], v14 offset:1040
	s_add_i32 s2, s2, 32
	s_waitcnt lgkmcnt(3)
	v_add_f16_e32 v0, v0, v2
	s_waitcnt lgkmcnt(2)
	v_add_f16_e32 v1, v1, v6
	v_add_f16_sdwa v0, v0, v2 dst_sel:DWORD dst_unused:UNUSED_PAD src0_sel:DWORD src1_sel:WORD_1
	v_add_f16_sdwa v1, v1, v6 dst_sel:DWORD dst_unused:UNUSED_PAD src0_sel:DWORD src1_sel:WORD_1
	v_add_f16_e32 v0, v0, v3
	v_add_f16_e32 v1, v1, v7
	v_add_f16_sdwa v0, v0, v3 dst_sel:DWORD dst_unused:UNUSED_PAD src0_sel:DWORD src1_sel:WORD_1
	v_add_f16_sdwa v1, v1, v7 dst_sel:DWORD dst_unused:UNUSED_PAD src0_sel:DWORD src1_sel:WORD_1
	v_add_f16_e32 v0, v0, v4
	;; [unrolled: 4-line block ×3, first 2 shown]
	v_add_f16_e32 v1, v1, v9
	v_add_f16_sdwa v0, v0, v5 dst_sel:DWORD dst_unused:UNUSED_PAD src0_sel:DWORD src1_sel:WORD_1
	v_add_f16_sdwa v1, v1, v9 dst_sel:DWORD dst_unused:UNUSED_PAD src0_sel:DWORD src1_sel:WORD_1
	s_waitcnt lgkmcnt(0)
	v_add_f16_e32 v0, v0, v14
	v_add_f16_e32 v1, v1, v10
	v_add_f16_sdwa v0, v0, v14 dst_sel:DWORD dst_unused:UNUSED_PAD src0_sel:DWORD src1_sel:WORD_1
	v_add_f16_sdwa v1, v1, v10 dst_sel:DWORD dst_unused:UNUSED_PAD src0_sel:DWORD src1_sel:WORD_1
	v_add_f16_e32 v0, v0, v15
	v_add_f16_e32 v1, v1, v11
	v_add_f16_sdwa v0, v0, v15 dst_sel:DWORD dst_unused:UNUSED_PAD src0_sel:DWORD src1_sel:WORD_1
	v_add_f16_sdwa v1, v1, v11 dst_sel:DWORD dst_unused:UNUSED_PAD src0_sel:DWORD src1_sel:WORD_1
	;; [unrolled: 4-line block ×3, first 2 shown]
	v_add_f16_e32 v0, v0, v17
	v_add_f16_e32 v1, v1, v13
	s_cmpk_eq_i32 s2, 0x400
	v_add_f16_sdwa v0, v0, v17 dst_sel:DWORD dst_unused:UNUSED_PAD src0_sel:DWORD src1_sel:WORD_1
	v_add_f16_sdwa v1, v1, v13 dst_sel:DWORD dst_unused:UNUSED_PAD src0_sel:DWORD src1_sel:WORD_1
	s_cbranch_scc0 .LBB8_11
; %bb.12:
	v_cvt_f32_f16_e32 v2, v1
	v_cvt_f32_f16_e32 v3, v0
	s_load_dword s0, s[0:1], 0x28
	v_rcp_f32_e32 v2, v2
	s_waitcnt lgkmcnt(0)
	s_bitcmp1_b32 s0, 0
	v_mul_f32_e32 v3, v3, v2
	v_fma_mix_f32 v4, -v1, v3, v0 op_sel_hi:[1,0,1]
	s_cselect_b64 vcc, -1, 0
	v_fmac_f32_e32 v3, v4, v2
	v_fma_mix_f32 v4, -v1, v3, v0 op_sel_hi:[1,0,1]
	s_nop 0
	v_mul_f32_e32 v2, v4, v2
	v_and_b32_e32 v2, 0xff800000, v2
	v_add_f32_e32 v2, v2, v3
	v_cvt_f16_f32_e32 v2, v2
	v_mov_b32_e32 v3, 0
	global_store_short v3, v1, s[6:7]
	v_div_fixup_f16 v1, v2, v1, v0
	v_cndmask_b32_e32 v0, v0, v1, vcc
	global_store_short v3, v0, s[4:5]
.LBB8_13:
	s_endpgm
	.section	.rodata,"a",@progbits
	.p2align	6, 0x0
	.amdhsa_kernel _Z32nll_loss_forward_reduce2d_kernelI6__halfS0_iLi512EEvPT_S2_PKS1_PKT1_S4_blll
		.amdhsa_group_segment_fixed_size 2048
		.amdhsa_private_segment_fixed_size 0
		.amdhsa_kernarg_size 72
		.amdhsa_user_sgpr_count 2
		.amdhsa_user_sgpr_dispatch_ptr 0
		.amdhsa_user_sgpr_queue_ptr 0
		.amdhsa_user_sgpr_kernarg_segment_ptr 1
		.amdhsa_user_sgpr_dispatch_id 0
		.amdhsa_user_sgpr_kernarg_preload_length 0
		.amdhsa_user_sgpr_kernarg_preload_offset 0
		.amdhsa_user_sgpr_private_segment_size 0
		.amdhsa_uses_dynamic_stack 0
		.amdhsa_enable_private_segment 0
		.amdhsa_system_sgpr_workgroup_id_x 1
		.amdhsa_system_sgpr_workgroup_id_y 0
		.amdhsa_system_sgpr_workgroup_id_z 0
		.amdhsa_system_sgpr_workgroup_info 0
		.amdhsa_system_vgpr_workitem_id 0
		.amdhsa_next_free_vgpr 18
		.amdhsa_next_free_sgpr 26
		.amdhsa_accum_offset 20
		.amdhsa_reserve_vcc 1
		.amdhsa_float_round_mode_32 0
		.amdhsa_float_round_mode_16_64 0
		.amdhsa_float_denorm_mode_32 3
		.amdhsa_float_denorm_mode_16_64 3
		.amdhsa_dx10_clamp 1
		.amdhsa_ieee_mode 1
		.amdhsa_fp16_overflow 0
		.amdhsa_tg_split 0
		.amdhsa_exception_fp_ieee_invalid_op 0
		.amdhsa_exception_fp_denorm_src 0
		.amdhsa_exception_fp_ieee_div_zero 0
		.amdhsa_exception_fp_ieee_overflow 0
		.amdhsa_exception_fp_ieee_underflow 0
		.amdhsa_exception_fp_ieee_inexact 0
		.amdhsa_exception_int_div_zero 0
	.end_amdhsa_kernel
	.section	.text._Z32nll_loss_forward_reduce2d_kernelI6__halfS0_iLi512EEvPT_S2_PKS1_PKT1_S4_blll,"axG",@progbits,_Z32nll_loss_forward_reduce2d_kernelI6__halfS0_iLi512EEvPT_S2_PKS1_PKT1_S4_blll,comdat
.Lfunc_end8:
	.size	_Z32nll_loss_forward_reduce2d_kernelI6__halfS0_iLi512EEvPT_S2_PKS1_PKT1_S4_blll, .Lfunc_end8-_Z32nll_loss_forward_reduce2d_kernelI6__halfS0_iLi512EEvPT_S2_PKS1_PKT1_S4_blll
                                        ; -- End function
	.set _Z32nll_loss_forward_reduce2d_kernelI6__halfS0_iLi512EEvPT_S2_PKS1_PKT1_S4_blll.num_vgpr, 18
	.set _Z32nll_loss_forward_reduce2d_kernelI6__halfS0_iLi512EEvPT_S2_PKS1_PKT1_S4_blll.num_agpr, 0
	.set _Z32nll_loss_forward_reduce2d_kernelI6__halfS0_iLi512EEvPT_S2_PKS1_PKT1_S4_blll.numbered_sgpr, 26
	.set _Z32nll_loss_forward_reduce2d_kernelI6__halfS0_iLi512EEvPT_S2_PKS1_PKT1_S4_blll.num_named_barrier, 0
	.set _Z32nll_loss_forward_reduce2d_kernelI6__halfS0_iLi512EEvPT_S2_PKS1_PKT1_S4_blll.private_seg_size, 0
	.set _Z32nll_loss_forward_reduce2d_kernelI6__halfS0_iLi512EEvPT_S2_PKS1_PKT1_S4_blll.uses_vcc, 1
	.set _Z32nll_loss_forward_reduce2d_kernelI6__halfS0_iLi512EEvPT_S2_PKS1_PKT1_S4_blll.uses_flat_scratch, 0
	.set _Z32nll_loss_forward_reduce2d_kernelI6__halfS0_iLi512EEvPT_S2_PKS1_PKT1_S4_blll.has_dyn_sized_stack, 0
	.set _Z32nll_loss_forward_reduce2d_kernelI6__halfS0_iLi512EEvPT_S2_PKS1_PKT1_S4_blll.has_recursion, 0
	.set _Z32nll_loss_forward_reduce2d_kernelI6__halfS0_iLi512EEvPT_S2_PKS1_PKT1_S4_blll.has_indirect_call, 0
	.section	.AMDGPU.csdata,"",@progbits
; Kernel info:
; codeLenInByte = 764
; TotalNumSgprs: 32
; NumVgprs: 18
; NumAgprs: 0
; TotalNumVgprs: 18
; ScratchSize: 0
; MemoryBound: 0
; FloatMode: 240
; IeeeMode: 1
; LDSByteSize: 2048 bytes/workgroup (compile time only)
; SGPRBlocks: 3
; VGPRBlocks: 2
; NumSGPRsForWavesPerEU: 32
; NumVGPRsForWavesPerEU: 18
; AccumOffset: 20
; Occupancy: 8
; WaveLimiterHint : 1
; COMPUTE_PGM_RSRC2:SCRATCH_EN: 0
; COMPUTE_PGM_RSRC2:USER_SGPR: 2
; COMPUTE_PGM_RSRC2:TRAP_HANDLER: 0
; COMPUTE_PGM_RSRC2:TGID_X_EN: 1
; COMPUTE_PGM_RSRC2:TGID_Y_EN: 0
; COMPUTE_PGM_RSRC2:TGID_Z_EN: 0
; COMPUTE_PGM_RSRC2:TIDIG_COMP_CNT: 0
; COMPUTE_PGM_RSRC3_GFX90A:ACCUM_OFFSET: 4
; COMPUTE_PGM_RSRC3_GFX90A:TG_SPLIT: 0
	.section	.text._Z32nll_loss_forward_reduce2d_kernelI6__halfS0_iLi1024EEvPT_S2_PKS1_PKT1_S4_blll,"axG",@progbits,_Z32nll_loss_forward_reduce2d_kernelI6__halfS0_iLi1024EEvPT_S2_PKS1_PKT1_S4_blll,comdat
	.protected	_Z32nll_loss_forward_reduce2d_kernelI6__halfS0_iLi1024EEvPT_S2_PKS1_PKT1_S4_blll ; -- Begin function _Z32nll_loss_forward_reduce2d_kernelI6__halfS0_iLi1024EEvPT_S2_PKS1_PKT1_S4_blll
	.globl	_Z32nll_loss_forward_reduce2d_kernelI6__halfS0_iLi1024EEvPT_S2_PKS1_PKT1_S4_blll
	.p2align	8
	.type	_Z32nll_loss_forward_reduce2d_kernelI6__halfS0_iLi1024EEvPT_S2_PKS1_PKT1_S4_blll,@function
_Z32nll_loss_forward_reduce2d_kernelI6__halfS0_iLi1024EEvPT_S2_PKS1_PKT1_S4_blll: ; @_Z32nll_loss_forward_reduce2d_kernelI6__halfS0_iLi1024EEvPT_S2_PKS1_PKT1_S4_blll
; %bb.0:
	s_load_dwordx4 s[4:7], s[0:1], 0x0
	s_load_dwordx4 s[8:11], s[0:1], 0x30
	v_mov_b32_e32 v1, 0
	v_lshlrev_b32_e32 v10, 1, v0
	ds_write_b16 v10, v1 offset:2048
	ds_write_b16 v10, v1
	s_waitcnt lgkmcnt(0)
	v_cmp_gt_i64_e32 vcc, s[8:9], v[0:1]
	s_and_saveexec_b64 s[12:13], vcc
	s_cbranch_execz .LBB9_8
; %bb.1:
	s_load_dwordx2 s[14:15], s[0:1], 0x20
	s_load_dwordx4 s[20:23], s[0:1], 0x10
	s_load_dwordx2 s[16:17], s[0:1], 0x40
	v_mad_u64_u32 v[2:3], s[24:25], s10, v0, 0
	s_waitcnt lgkmcnt(0)
	s_cmp_lg_u64 s[14:15], 0
	v_mov_b32_e32 v4, v3
	s_cselect_b64 s[2:3], -1, 0
	v_mad_u64_u32 v[4:5], s[24:25], s11, v0, v[4:5]
	v_mov_b32_e32 v3, v4
	v_lshlrev_b32_e32 v4, 2, v0
	v_mov_b32_e32 v5, v1
	v_cndmask_b32_e64 v6, 0, 1, s[2:3]
	v_or_b32_e32 v11, 0x800, v10
	s_mov_b64 s[18:19], 0
	v_lshl_add_u64 v[2:3], v[2:3], 1, s[20:21]
	s_lshl_b64 s[10:11], s[10:11], 11
	v_lshl_add_u64 v[4:5], s[22:23], 0, v[4:5]
	v_cmp_ne_u32_e64 s[2:3], 1, v6
	s_mov_b64 s[20:21], 0x400
	s_mov_b64 s[22:23], 0x1000
	v_mov_b32_e32 v12, v1
	v_mov_b64_e32 v[6:7], v[0:1]
	s_branch .LBB9_5
.LBB9_2:                                ;   in Loop: Header=BB9_5 Depth=1
	v_lshl_add_u64 v[14:15], v[8:9], 1, s[14:15]
	global_load_ushort v13, v[14:15], off
.LBB9_3:                                ;   in Loop: Header=BB9_5 Depth=1
	v_lshl_add_u64 v[8:9], v[8:9], 1, v[2:3]
	global_load_ushort v8, v[8:9], off
	s_waitcnt vmcnt(1)
	v_add_f16_e32 v1, v13, v1
	s_waitcnt vmcnt(0)
	v_fma_f16 v12, -v13, v8, v12
	ds_write_b16 v11, v12
	ds_write_b16 v10, v1
.LBB9_4:                                ;   in Loop: Header=BB9_5 Depth=1
	s_or_b64 exec, exec, s[24:25]
	v_lshl_add_u64 v[6:7], v[6:7], 0, s[20:21]
	v_cmp_le_i64_e32 vcc, s[8:9], v[6:7]
	v_lshl_add_u64 v[2:3], v[2:3], 0, s[10:11]
	s_or_b64 s[18:19], vcc, s[18:19]
	v_lshl_add_u64 v[4:5], v[4:5], 0, s[22:23]
	s_andn2_b64 exec, exec, s[18:19]
	s_cbranch_execz .LBB9_8
.LBB9_5:                                ; =>This Inner Loop Header: Depth=1
	global_load_dword v8, v[4:5], off
	s_waitcnt vmcnt(0)
	v_ashrrev_i32_e32 v9, 31, v8
	v_cmp_ne_u64_e32 vcc, s[16:17], v[8:9]
	s_and_saveexec_b64 s[24:25], vcc
	s_cbranch_execz .LBB9_4
; %bb.6:                                ;   in Loop: Header=BB9_5 Depth=1
	s_and_b64 vcc, exec, s[2:3]
	s_cbranch_vccz .LBB9_2
; %bb.7:                                ;   in Loop: Header=BB9_5 Depth=1
	v_mov_b32_e32 v13, 0x3c00
	s_branch .LBB9_3
.LBB9_8:
	s_or_b64 exec, exec, s[12:13]
; %bb.9:
	s_mov_b32 s2, 0
	v_cmp_eq_u32_e32 vcc, 0, v0
	s_waitcnt lgkmcnt(0)
	s_barrier
	s_and_saveexec_b64 s[8:9], vcc
	s_cbranch_execz .LBB9_13
; %bb.10:
	v_mov_b32_e32 v1, 0
	v_mov_b32_e32 v0, 0
.LBB9_11:                               ; =>This Inner Loop Header: Depth=1
	v_mov_b32_e32 v14, s2
	ds_read_b128 v[2:5], v14 offset:2048
	ds_read_b128 v[6:9], v14
	ds_read_b128 v[10:13], v14 offset:16
	ds_read_b128 v[14:17], v14 offset:2064
	s_add_i32 s2, s2, 32
	s_waitcnt lgkmcnt(3)
	v_add_f16_e32 v0, v0, v2
	s_waitcnt lgkmcnt(2)
	v_add_f16_e32 v1, v1, v6
	v_add_f16_sdwa v0, v0, v2 dst_sel:DWORD dst_unused:UNUSED_PAD src0_sel:DWORD src1_sel:WORD_1
	v_add_f16_sdwa v1, v1, v6 dst_sel:DWORD dst_unused:UNUSED_PAD src0_sel:DWORD src1_sel:WORD_1
	v_add_f16_e32 v0, v0, v3
	v_add_f16_e32 v1, v1, v7
	v_add_f16_sdwa v0, v0, v3 dst_sel:DWORD dst_unused:UNUSED_PAD src0_sel:DWORD src1_sel:WORD_1
	v_add_f16_sdwa v1, v1, v7 dst_sel:DWORD dst_unused:UNUSED_PAD src0_sel:DWORD src1_sel:WORD_1
	v_add_f16_e32 v0, v0, v4
	;; [unrolled: 4-line block ×3, first 2 shown]
	v_add_f16_e32 v1, v1, v9
	v_add_f16_sdwa v0, v0, v5 dst_sel:DWORD dst_unused:UNUSED_PAD src0_sel:DWORD src1_sel:WORD_1
	v_add_f16_sdwa v1, v1, v9 dst_sel:DWORD dst_unused:UNUSED_PAD src0_sel:DWORD src1_sel:WORD_1
	s_waitcnt lgkmcnt(0)
	v_add_f16_e32 v0, v0, v14
	v_add_f16_e32 v1, v1, v10
	v_add_f16_sdwa v0, v0, v14 dst_sel:DWORD dst_unused:UNUSED_PAD src0_sel:DWORD src1_sel:WORD_1
	v_add_f16_sdwa v1, v1, v10 dst_sel:DWORD dst_unused:UNUSED_PAD src0_sel:DWORD src1_sel:WORD_1
	v_add_f16_e32 v0, v0, v15
	v_add_f16_e32 v1, v1, v11
	v_add_f16_sdwa v0, v0, v15 dst_sel:DWORD dst_unused:UNUSED_PAD src0_sel:DWORD src1_sel:WORD_1
	v_add_f16_sdwa v1, v1, v11 dst_sel:DWORD dst_unused:UNUSED_PAD src0_sel:DWORD src1_sel:WORD_1
	;; [unrolled: 4-line block ×3, first 2 shown]
	v_add_f16_e32 v0, v0, v17
	v_add_f16_e32 v1, v1, v13
	s_cmpk_eq_i32 s2, 0x800
	v_add_f16_sdwa v0, v0, v17 dst_sel:DWORD dst_unused:UNUSED_PAD src0_sel:DWORD src1_sel:WORD_1
	v_add_f16_sdwa v1, v1, v13 dst_sel:DWORD dst_unused:UNUSED_PAD src0_sel:DWORD src1_sel:WORD_1
	s_cbranch_scc0 .LBB9_11
; %bb.12:
	v_cvt_f32_f16_e32 v2, v1
	v_cvt_f32_f16_e32 v3, v0
	s_load_dword s0, s[0:1], 0x28
	v_rcp_f32_e32 v2, v2
	s_waitcnt lgkmcnt(0)
	s_bitcmp1_b32 s0, 0
	v_mul_f32_e32 v3, v3, v2
	v_fma_mix_f32 v4, -v1, v3, v0 op_sel_hi:[1,0,1]
	s_cselect_b64 vcc, -1, 0
	v_fmac_f32_e32 v3, v4, v2
	v_fma_mix_f32 v4, -v1, v3, v0 op_sel_hi:[1,0,1]
	s_nop 0
	v_mul_f32_e32 v2, v4, v2
	v_and_b32_e32 v2, 0xff800000, v2
	v_add_f32_e32 v2, v2, v3
	v_cvt_f16_f32_e32 v2, v2
	v_mov_b32_e32 v3, 0
	global_store_short v3, v1, s[6:7]
	v_div_fixup_f16 v1, v2, v1, v0
	v_cndmask_b32_e32 v0, v0, v1, vcc
	global_store_short v3, v0, s[4:5]
.LBB9_13:
	s_endpgm
	.section	.rodata,"a",@progbits
	.p2align	6, 0x0
	.amdhsa_kernel _Z32nll_loss_forward_reduce2d_kernelI6__halfS0_iLi1024EEvPT_S2_PKS1_PKT1_S4_blll
		.amdhsa_group_segment_fixed_size 4096
		.amdhsa_private_segment_fixed_size 0
		.amdhsa_kernarg_size 72
		.amdhsa_user_sgpr_count 2
		.amdhsa_user_sgpr_dispatch_ptr 0
		.amdhsa_user_sgpr_queue_ptr 0
		.amdhsa_user_sgpr_kernarg_segment_ptr 1
		.amdhsa_user_sgpr_dispatch_id 0
		.amdhsa_user_sgpr_kernarg_preload_length 0
		.amdhsa_user_sgpr_kernarg_preload_offset 0
		.amdhsa_user_sgpr_private_segment_size 0
		.amdhsa_uses_dynamic_stack 0
		.amdhsa_enable_private_segment 0
		.amdhsa_system_sgpr_workgroup_id_x 1
		.amdhsa_system_sgpr_workgroup_id_y 0
		.amdhsa_system_sgpr_workgroup_id_z 0
		.amdhsa_system_sgpr_workgroup_info 0
		.amdhsa_system_vgpr_workitem_id 0
		.amdhsa_next_free_vgpr 18
		.amdhsa_next_free_sgpr 26
		.amdhsa_accum_offset 20
		.amdhsa_reserve_vcc 1
		.amdhsa_float_round_mode_32 0
		.amdhsa_float_round_mode_16_64 0
		.amdhsa_float_denorm_mode_32 3
		.amdhsa_float_denorm_mode_16_64 3
		.amdhsa_dx10_clamp 1
		.amdhsa_ieee_mode 1
		.amdhsa_fp16_overflow 0
		.amdhsa_tg_split 0
		.amdhsa_exception_fp_ieee_invalid_op 0
		.amdhsa_exception_fp_denorm_src 0
		.amdhsa_exception_fp_ieee_div_zero 0
		.amdhsa_exception_fp_ieee_overflow 0
		.amdhsa_exception_fp_ieee_underflow 0
		.amdhsa_exception_fp_ieee_inexact 0
		.amdhsa_exception_int_div_zero 0
	.end_amdhsa_kernel
	.section	.text._Z32nll_loss_forward_reduce2d_kernelI6__halfS0_iLi1024EEvPT_S2_PKS1_PKT1_S4_blll,"axG",@progbits,_Z32nll_loss_forward_reduce2d_kernelI6__halfS0_iLi1024EEvPT_S2_PKS1_PKT1_S4_blll,comdat
.Lfunc_end9:
	.size	_Z32nll_loss_forward_reduce2d_kernelI6__halfS0_iLi1024EEvPT_S2_PKS1_PKT1_S4_blll, .Lfunc_end9-_Z32nll_loss_forward_reduce2d_kernelI6__halfS0_iLi1024EEvPT_S2_PKS1_PKT1_S4_blll
                                        ; -- End function
	.set _Z32nll_loss_forward_reduce2d_kernelI6__halfS0_iLi1024EEvPT_S2_PKS1_PKT1_S4_blll.num_vgpr, 18
	.set _Z32nll_loss_forward_reduce2d_kernelI6__halfS0_iLi1024EEvPT_S2_PKS1_PKT1_S4_blll.num_agpr, 0
	.set _Z32nll_loss_forward_reduce2d_kernelI6__halfS0_iLi1024EEvPT_S2_PKS1_PKT1_S4_blll.numbered_sgpr, 26
	.set _Z32nll_loss_forward_reduce2d_kernelI6__halfS0_iLi1024EEvPT_S2_PKS1_PKT1_S4_blll.num_named_barrier, 0
	.set _Z32nll_loss_forward_reduce2d_kernelI6__halfS0_iLi1024EEvPT_S2_PKS1_PKT1_S4_blll.private_seg_size, 0
	.set _Z32nll_loss_forward_reduce2d_kernelI6__halfS0_iLi1024EEvPT_S2_PKS1_PKT1_S4_blll.uses_vcc, 1
	.set _Z32nll_loss_forward_reduce2d_kernelI6__halfS0_iLi1024EEvPT_S2_PKS1_PKT1_S4_blll.uses_flat_scratch, 0
	.set _Z32nll_loss_forward_reduce2d_kernelI6__halfS0_iLi1024EEvPT_S2_PKS1_PKT1_S4_blll.has_dyn_sized_stack, 0
	.set _Z32nll_loss_forward_reduce2d_kernelI6__halfS0_iLi1024EEvPT_S2_PKS1_PKT1_S4_blll.has_recursion, 0
	.set _Z32nll_loss_forward_reduce2d_kernelI6__halfS0_iLi1024EEvPT_S2_PKS1_PKT1_S4_blll.has_indirect_call, 0
	.section	.AMDGPU.csdata,"",@progbits
; Kernel info:
; codeLenInByte = 764
; TotalNumSgprs: 32
; NumVgprs: 18
; NumAgprs: 0
; TotalNumVgprs: 18
; ScratchSize: 0
; MemoryBound: 0
; FloatMode: 240
; IeeeMode: 1
; LDSByteSize: 4096 bytes/workgroup (compile time only)
; SGPRBlocks: 3
; VGPRBlocks: 2
; NumSGPRsForWavesPerEU: 32
; NumVGPRsForWavesPerEU: 18
; AccumOffset: 20
; Occupancy: 8
; WaveLimiterHint : 1
; COMPUTE_PGM_RSRC2:SCRATCH_EN: 0
; COMPUTE_PGM_RSRC2:USER_SGPR: 2
; COMPUTE_PGM_RSRC2:TRAP_HANDLER: 0
; COMPUTE_PGM_RSRC2:TGID_X_EN: 1
; COMPUTE_PGM_RSRC2:TGID_Y_EN: 0
; COMPUTE_PGM_RSRC2:TGID_Z_EN: 0
; COMPUTE_PGM_RSRC2:TIDIG_COMP_CNT: 0
; COMPUTE_PGM_RSRC3_GFX90A:ACCUM_OFFSET: 4
; COMPUTE_PGM_RSRC3_GFX90A:TG_SPLIT: 0
	.section	.AMDGPU.gpr_maximums,"",@progbits
	.set amdgpu.max_num_vgpr, 0
	.set amdgpu.max_num_agpr, 0
	.set amdgpu.max_num_sgpr, 0
	.section	.AMDGPU.csdata,"",@progbits
	.type	__hip_cuid_7264c053ad9766dc,@object ; @__hip_cuid_7264c053ad9766dc
	.section	.bss,"aw",@nobits
	.globl	__hip_cuid_7264c053ad9766dc
__hip_cuid_7264c053ad9766dc:
	.byte	0                               ; 0x0
	.size	__hip_cuid_7264c053ad9766dc, 1

	.ident	"AMD clang version 22.0.0git (https://github.com/RadeonOpenCompute/llvm-project roc-7.2.4 26084 f58b06dce1f9c15707c5f808fd002e18c2accf7e)"
	.section	".note.GNU-stack","",@progbits
	.addrsig
	.addrsig_sym __hip_cuid_7264c053ad9766dc
	.amdgpu_metadata
---
amdhsa.kernels:
  - .agpr_count:     0
    .args:
      - .actual_access:  write_only
        .address_space:  global
        .offset:         0
        .size:           8
        .value_kind:     global_buffer
      - .actual_access:  write_only
        .address_space:  global
        .offset:         8
        .size:           8
        .value_kind:     global_buffer
      - .actual_access:  read_only
        .address_space:  global
        .offset:         16
        .size:           8
        .value_kind:     global_buffer
      - .actual_access:  read_only
        .address_space:  global
        .offset:         24
        .size:           8
        .value_kind:     global_buffer
      - .actual_access:  read_only
        .address_space:  global
        .offset:         32
        .size:           8
        .value_kind:     global_buffer
      - .offset:         40
        .size:           1
        .value_kind:     by_value
      - .offset:         48
        .size:           8
        .value_kind:     by_value
      - .offset:         56
        .size:           8
        .value_kind:     by_value
      - .offset:         64
        .size:           8
        .value_kind:     by_value
    .group_segment_fixed_size: 512
    .kernarg_segment_align: 8
    .kernarg_segment_size: 72
    .language:       OpenCL C
    .language_version:
      - 2
      - 0
    .max_flat_workgroup_size: 1024
    .name:           _Z32nll_loss_forward_reduce2d_kernelIffiLi64EEvPT_S1_PKS0_PKT1_S3_blll
    .private_segment_fixed_size: 0
    .sgpr_count:     32
    .sgpr_spill_count: 0
    .symbol:         _Z32nll_loss_forward_reduce2d_kernelIffiLi64EEvPT_S1_PKS0_PKT1_S3_blll.kd
    .uniform_work_group_size: 1
    .uses_dynamic_stack: false
    .vgpr_count:     34
    .vgpr_spill_count: 0
    .wavefront_size: 64
  - .agpr_count:     0
    .args:
      - .actual_access:  write_only
        .address_space:  global
        .offset:         0
        .size:           8
        .value_kind:     global_buffer
      - .actual_access:  write_only
        .address_space:  global
        .offset:         8
        .size:           8
        .value_kind:     global_buffer
      - .actual_access:  read_only
        .address_space:  global
        .offset:         16
        .size:           8
        .value_kind:     global_buffer
      - .actual_access:  read_only
        .address_space:  global
        .offset:         24
        .size:           8
        .value_kind:     global_buffer
      - .actual_access:  read_only
        .address_space:  global
        .offset:         32
        .size:           8
        .value_kind:     global_buffer
      - .offset:         40
        .size:           1
        .value_kind:     by_value
      - .offset:         48
        .size:           8
        .value_kind:     by_value
      - .offset:         56
        .size:           8
        .value_kind:     by_value
      - .offset:         64
        .size:           8
        .value_kind:     by_value
    .group_segment_fixed_size: 1024
    .kernarg_segment_align: 8
    .kernarg_segment_size: 72
    .language:       OpenCL C
    .language_version:
      - 2
      - 0
    .max_flat_workgroup_size: 1024
    .name:           _Z32nll_loss_forward_reduce2d_kernelIffiLi128EEvPT_S1_PKS0_PKT1_S3_blll
    .private_segment_fixed_size: 0
    .sgpr_count:     32
    .sgpr_spill_count: 0
    .symbol:         _Z32nll_loss_forward_reduce2d_kernelIffiLi128EEvPT_S1_PKS0_PKT1_S3_blll.kd
    .uniform_work_group_size: 1
    .uses_dynamic_stack: false
    .vgpr_count:     28
    .vgpr_spill_count: 0
    .wavefront_size: 64
  - .agpr_count:     0
    .args:
      - .actual_access:  write_only
        .address_space:  global
        .offset:         0
        .size:           8
        .value_kind:     global_buffer
      - .actual_access:  write_only
        .address_space:  global
        .offset:         8
        .size:           8
        .value_kind:     global_buffer
      - .actual_access:  read_only
        .address_space:  global
        .offset:         16
        .size:           8
        .value_kind:     global_buffer
      - .actual_access:  read_only
        .address_space:  global
        .offset:         24
        .size:           8
        .value_kind:     global_buffer
      - .actual_access:  read_only
        .address_space:  global
        .offset:         32
        .size:           8
        .value_kind:     global_buffer
      - .offset:         40
        .size:           1
        .value_kind:     by_value
      - .offset:         48
        .size:           8
        .value_kind:     by_value
      - .offset:         56
        .size:           8
        .value_kind:     by_value
      - .offset:         64
        .size:           8
        .value_kind:     by_value
    .group_segment_fixed_size: 2048
    .kernarg_segment_align: 8
    .kernarg_segment_size: 72
    .language:       OpenCL C
    .language_version:
      - 2
      - 0
    .max_flat_workgroup_size: 1024
    .name:           _Z32nll_loss_forward_reduce2d_kernelIffiLi256EEvPT_S1_PKS0_PKT1_S3_blll
    .private_segment_fixed_size: 0
    .sgpr_count:     32
    .sgpr_spill_count: 0
    .symbol:         _Z32nll_loss_forward_reduce2d_kernelIffiLi256EEvPT_S1_PKS0_PKT1_S3_blll.kd
    .uniform_work_group_size: 1
    .uses_dynamic_stack: false
    .vgpr_count:     36
    .vgpr_spill_count: 0
    .wavefront_size: 64
  - .agpr_count:     0
    .args:
      - .actual_access:  write_only
        .address_space:  global
        .offset:         0
        .size:           8
        .value_kind:     global_buffer
      - .actual_access:  write_only
        .address_space:  global
        .offset:         8
        .size:           8
        .value_kind:     global_buffer
      - .actual_access:  read_only
        .address_space:  global
        .offset:         16
        .size:           8
        .value_kind:     global_buffer
      - .actual_access:  read_only
        .address_space:  global
        .offset:         24
        .size:           8
        .value_kind:     global_buffer
      - .actual_access:  read_only
        .address_space:  global
        .offset:         32
        .size:           8
        .value_kind:     global_buffer
      - .offset:         40
        .size:           1
        .value_kind:     by_value
      - .offset:         48
        .size:           8
        .value_kind:     by_value
      - .offset:         56
        .size:           8
        .value_kind:     by_value
      - .offset:         64
        .size:           8
        .value_kind:     by_value
    .group_segment_fixed_size: 4096
    .kernarg_segment_align: 8
    .kernarg_segment_size: 72
    .language:       OpenCL C
    .language_version:
      - 2
      - 0
    .max_flat_workgroup_size: 1024
    .name:           _Z32nll_loss_forward_reduce2d_kernelIffiLi512EEvPT_S1_PKS0_PKT1_S3_blll
    .private_segment_fixed_size: 0
    .sgpr_count:     32
    .sgpr_spill_count: 0
    .symbol:         _Z32nll_loss_forward_reduce2d_kernelIffiLi512EEvPT_S1_PKS0_PKT1_S3_blll.kd
    .uniform_work_group_size: 1
    .uses_dynamic_stack: false
    .vgpr_count:     36
    .vgpr_spill_count: 0
    .wavefront_size: 64
  - .agpr_count:     0
    .args:
      - .actual_access:  write_only
        .address_space:  global
        .offset:         0
        .size:           8
        .value_kind:     global_buffer
      - .actual_access:  write_only
        .address_space:  global
        .offset:         8
        .size:           8
        .value_kind:     global_buffer
      - .actual_access:  read_only
        .address_space:  global
        .offset:         16
        .size:           8
        .value_kind:     global_buffer
      - .actual_access:  read_only
        .address_space:  global
        .offset:         24
        .size:           8
        .value_kind:     global_buffer
      - .actual_access:  read_only
        .address_space:  global
        .offset:         32
        .size:           8
        .value_kind:     global_buffer
      - .offset:         40
        .size:           1
        .value_kind:     by_value
      - .offset:         48
        .size:           8
        .value_kind:     by_value
      - .offset:         56
        .size:           8
        .value_kind:     by_value
      - .offset:         64
        .size:           8
        .value_kind:     by_value
    .group_segment_fixed_size: 8192
    .kernarg_segment_align: 8
    .kernarg_segment_size: 72
    .language:       OpenCL C
    .language_version:
      - 2
      - 0
    .max_flat_workgroup_size: 1024
    .name:           _Z32nll_loss_forward_reduce2d_kernelIffiLi1024EEvPT_S1_PKS0_PKT1_S3_blll
    .private_segment_fixed_size: 0
    .sgpr_count:     32
    .sgpr_spill_count: 0
    .symbol:         _Z32nll_loss_forward_reduce2d_kernelIffiLi1024EEvPT_S1_PKS0_PKT1_S3_blll.kd
    .uniform_work_group_size: 1
    .uses_dynamic_stack: false
    .vgpr_count:     36
    .vgpr_spill_count: 0
    .wavefront_size: 64
  - .agpr_count:     0
    .args:
      - .actual_access:  write_only
        .address_space:  global
        .offset:         0
        .size:           8
        .value_kind:     global_buffer
      - .actual_access:  write_only
        .address_space:  global
        .offset:         8
        .size:           8
        .value_kind:     global_buffer
      - .actual_access:  read_only
        .address_space:  global
        .offset:         16
        .size:           8
        .value_kind:     global_buffer
      - .actual_access:  read_only
        .address_space:  global
        .offset:         24
        .size:           8
        .value_kind:     global_buffer
      - .actual_access:  read_only
        .address_space:  global
        .offset:         32
        .size:           8
        .value_kind:     global_buffer
      - .offset:         40
        .size:           1
        .value_kind:     by_value
      - .offset:         48
        .size:           8
        .value_kind:     by_value
      - .offset:         56
        .size:           8
        .value_kind:     by_value
      - .offset:         64
        .size:           8
        .value_kind:     by_value
    .group_segment_fixed_size: 256
    .kernarg_segment_align: 8
    .kernarg_segment_size: 72
    .language:       OpenCL C
    .language_version:
      - 2
      - 0
    .max_flat_workgroup_size: 1024
    .name:           _Z32nll_loss_forward_reduce2d_kernelI6__halfS0_iLi64EEvPT_S2_PKS1_PKT1_S4_blll
    .private_segment_fixed_size: 0
    .sgpr_count:     32
    .sgpr_spill_count: 0
    .symbol:         _Z32nll_loss_forward_reduce2d_kernelI6__halfS0_iLi64EEvPT_S2_PKS1_PKT1_S4_blll.kd
    .uniform_work_group_size: 1
    .uses_dynamic_stack: false
    .vgpr_count:     28
    .vgpr_spill_count: 0
    .wavefront_size: 64
  - .agpr_count:     0
    .args:
      - .actual_access:  write_only
        .address_space:  global
        .offset:         0
        .size:           8
        .value_kind:     global_buffer
      - .actual_access:  write_only
        .address_space:  global
        .offset:         8
        .size:           8
        .value_kind:     global_buffer
      - .actual_access:  read_only
        .address_space:  global
        .offset:         16
        .size:           8
        .value_kind:     global_buffer
      - .actual_access:  read_only
        .address_space:  global
        .offset:         24
        .size:           8
        .value_kind:     global_buffer
      - .actual_access:  read_only
        .address_space:  global
        .offset:         32
        .size:           8
        .value_kind:     global_buffer
      - .offset:         40
        .size:           1
        .value_kind:     by_value
      - .offset:         48
        .size:           8
        .value_kind:     by_value
      - .offset:         56
        .size:           8
        .value_kind:     by_value
      - .offset:         64
        .size:           8
        .value_kind:     by_value
    .group_segment_fixed_size: 512
    .kernarg_segment_align: 8
    .kernarg_segment_size: 72
    .language:       OpenCL C
    .language_version:
      - 2
      - 0
    .max_flat_workgroup_size: 1024
    .name:           _Z32nll_loss_forward_reduce2d_kernelI6__halfS0_iLi128EEvPT_S2_PKS1_PKT1_S4_blll
    .private_segment_fixed_size: 0
    .sgpr_count:     32
    .sgpr_spill_count: 0
    .symbol:         _Z32nll_loss_forward_reduce2d_kernelI6__halfS0_iLi128EEvPT_S2_PKS1_PKT1_S4_blll.kd
    .uniform_work_group_size: 1
    .uses_dynamic_stack: false
    .vgpr_count:     18
    .vgpr_spill_count: 0
    .wavefront_size: 64
  - .agpr_count:     0
    .args:
      - .actual_access:  write_only
        .address_space:  global
        .offset:         0
        .size:           8
        .value_kind:     global_buffer
      - .actual_access:  write_only
        .address_space:  global
        .offset:         8
        .size:           8
        .value_kind:     global_buffer
      - .actual_access:  read_only
        .address_space:  global
        .offset:         16
        .size:           8
        .value_kind:     global_buffer
      - .actual_access:  read_only
        .address_space:  global
        .offset:         24
        .size:           8
        .value_kind:     global_buffer
      - .actual_access:  read_only
        .address_space:  global
        .offset:         32
        .size:           8
        .value_kind:     global_buffer
      - .offset:         40
        .size:           1
        .value_kind:     by_value
      - .offset:         48
        .size:           8
        .value_kind:     by_value
      - .offset:         56
        .size:           8
        .value_kind:     by_value
      - .offset:         64
        .size:           8
        .value_kind:     by_value
    .group_segment_fixed_size: 1024
    .kernarg_segment_align: 8
    .kernarg_segment_size: 72
    .language:       OpenCL C
    .language_version:
      - 2
      - 0
    .max_flat_workgroup_size: 1024
    .name:           _Z32nll_loss_forward_reduce2d_kernelI6__halfS0_iLi256EEvPT_S2_PKS1_PKT1_S4_blll
    .private_segment_fixed_size: 0
    .sgpr_count:     32
    .sgpr_spill_count: 0
    .symbol:         _Z32nll_loss_forward_reduce2d_kernelI6__halfS0_iLi256EEvPT_S2_PKS1_PKT1_S4_blll.kd
    .uniform_work_group_size: 1
    .uses_dynamic_stack: false
    .vgpr_count:     18
    .vgpr_spill_count: 0
    .wavefront_size: 64
  - .agpr_count:     0
    .args:
      - .actual_access:  write_only
        .address_space:  global
        .offset:         0
        .size:           8
        .value_kind:     global_buffer
      - .actual_access:  write_only
        .address_space:  global
        .offset:         8
        .size:           8
        .value_kind:     global_buffer
      - .actual_access:  read_only
        .address_space:  global
        .offset:         16
        .size:           8
        .value_kind:     global_buffer
      - .actual_access:  read_only
        .address_space:  global
        .offset:         24
        .size:           8
        .value_kind:     global_buffer
      - .actual_access:  read_only
        .address_space:  global
        .offset:         32
        .size:           8
        .value_kind:     global_buffer
      - .offset:         40
        .size:           1
        .value_kind:     by_value
      - .offset:         48
        .size:           8
        .value_kind:     by_value
      - .offset:         56
        .size:           8
        .value_kind:     by_value
      - .offset:         64
        .size:           8
        .value_kind:     by_value
    .group_segment_fixed_size: 2048
    .kernarg_segment_align: 8
    .kernarg_segment_size: 72
    .language:       OpenCL C
    .language_version:
      - 2
      - 0
    .max_flat_workgroup_size: 1024
    .name:           _Z32nll_loss_forward_reduce2d_kernelI6__halfS0_iLi512EEvPT_S2_PKS1_PKT1_S4_blll
    .private_segment_fixed_size: 0
    .sgpr_count:     32
    .sgpr_spill_count: 0
    .symbol:         _Z32nll_loss_forward_reduce2d_kernelI6__halfS0_iLi512EEvPT_S2_PKS1_PKT1_S4_blll.kd
    .uniform_work_group_size: 1
    .uses_dynamic_stack: false
    .vgpr_count:     18
    .vgpr_spill_count: 0
    .wavefront_size: 64
  - .agpr_count:     0
    .args:
      - .actual_access:  write_only
        .address_space:  global
        .offset:         0
        .size:           8
        .value_kind:     global_buffer
      - .actual_access:  write_only
        .address_space:  global
        .offset:         8
        .size:           8
        .value_kind:     global_buffer
      - .actual_access:  read_only
        .address_space:  global
        .offset:         16
        .size:           8
        .value_kind:     global_buffer
      - .actual_access:  read_only
        .address_space:  global
        .offset:         24
        .size:           8
        .value_kind:     global_buffer
      - .actual_access:  read_only
        .address_space:  global
        .offset:         32
        .size:           8
        .value_kind:     global_buffer
      - .offset:         40
        .size:           1
        .value_kind:     by_value
      - .offset:         48
        .size:           8
        .value_kind:     by_value
      - .offset:         56
        .size:           8
        .value_kind:     by_value
      - .offset:         64
        .size:           8
        .value_kind:     by_value
    .group_segment_fixed_size: 4096
    .kernarg_segment_align: 8
    .kernarg_segment_size: 72
    .language:       OpenCL C
    .language_version:
      - 2
      - 0
    .max_flat_workgroup_size: 1024
    .name:           _Z32nll_loss_forward_reduce2d_kernelI6__halfS0_iLi1024EEvPT_S2_PKS1_PKT1_S4_blll
    .private_segment_fixed_size: 0
    .sgpr_count:     32
    .sgpr_spill_count: 0
    .symbol:         _Z32nll_loss_forward_reduce2d_kernelI6__halfS0_iLi1024EEvPT_S2_PKS1_PKT1_S4_blll.kd
    .uniform_work_group_size: 1
    .uses_dynamic_stack: false
    .vgpr_count:     18
    .vgpr_spill_count: 0
    .wavefront_size: 64
amdhsa.target:   amdgcn-amd-amdhsa--gfx950
amdhsa.version:
  - 1
  - 2
...

	.end_amdgpu_metadata
